;; amdgpu-corpus repo=ROCm/rocFFT kind=compiled arch=gfx906 opt=O3
	.text
	.amdgcn_target "amdgcn-amd-amdhsa--gfx906"
	.amdhsa_code_object_version 6
	.protected	bluestein_single_back_len1782_dim1_sp_op_CI_CI ; -- Begin function bluestein_single_back_len1782_dim1_sp_op_CI_CI
	.globl	bluestein_single_back_len1782_dim1_sp_op_CI_CI
	.p2align	8
	.type	bluestein_single_back_len1782_dim1_sp_op_CI_CI,@function
bluestein_single_back_len1782_dim1_sp_op_CI_CI: ; @bluestein_single_back_len1782_dim1_sp_op_CI_CI
; %bb.0:
	s_load_dwordx4 s[0:3], s[4:5], 0x28
	v_mul_u32_u24_e32 v1, 0x296, v0
	v_add_u32_sdwa v136, s6, v1 dst_sel:DWORD dst_unused:UNUSED_PAD src0_sel:DWORD src1_sel:WORD_1
	v_mov_b32_e32 v137, 0
	s_waitcnt lgkmcnt(0)
	v_cmp_gt_u64_e32 vcc, s[0:1], v[136:137]
	s_and_saveexec_b64 s[0:1], vcc
	s_cbranch_execz .LBB0_15
; %bb.1:
	s_load_dwordx4 s[16:19], s[4:5], 0x18
	s_movk_i32 s0, 0x63
	v_mul_lo_u16_sdwa v1, v1, s0 dst_sel:DWORD dst_unused:UNUSED_PAD src0_sel:WORD_1 src1_sel:DWORD
	v_sub_u16_e32 v168, v0, v1
	v_lshlrev_b32_e32 v167, 3, v168
	s_waitcnt lgkmcnt(0)
	s_load_dwordx4 s[12:15], s[16:17], 0x0
	s_waitcnt lgkmcnt(0)
	v_mad_u64_u32 v[0:1], s[0:1], s14, v136, 0
	v_mad_u64_u32 v[2:3], s[0:1], s12, v168, 0
	;; [unrolled: 1-line block ×3, first 2 shown]
	s_load_dwordx2 s[14:15], s[4:5], 0x0
	v_mad_u64_u32 v[5:6], s[0:1], s13, v168, v[3:4]
	v_mov_b32_e32 v1, v4
	v_lshlrev_b64 v[0:1], 3, v[0:1]
	v_mov_b32_e32 v6, s3
	v_mov_b32_e32 v3, v5
	v_add_co_u32_e32 v4, vcc, s2, v0
	v_addc_co_u32_e32 v5, vcc, v6, v1, vcc
	v_lshlrev_b64 v[0:1], 3, v[2:3]
	s_mul_i32 s0, s13, 0xa2
	s_mul_hi_u32 s1, s12, 0xa2
	v_add_co_u32_e32 v0, vcc, v4, v0
	s_waitcnt lgkmcnt(0)
	v_mov_b32_e32 v2, s15
	v_add_co_u32_e64 v120, s[2:3], s14, v167
	s_add_i32 s1, s1, s0
	s_mul_i32 s0, s12, 0xa2
	v_addc_co_u32_e32 v1, vcc, v5, v1, vcc
	v_addc_co_u32_e64 v121, vcc, 0, v2, s[2:3]
	s_lshl_b64 s[16:17], s[0:1], 3
	v_mov_b32_e32 v28, s17
	v_add_co_u32_e32 v2, vcc, s16, v0
	v_addc_co_u32_e32 v3, vcc, v1, v28, vcc
	v_add_co_u32_e32 v4, vcc, s16, v2
	v_addc_co_u32_e32 v5, vcc, v3, v28, vcc
	;; [unrolled: 2-line block ×3, first 2 shown]
	global_load_dwordx2 v[8:9], v[0:1], off
	global_load_dwordx2 v[10:11], v[2:3], off
	;; [unrolled: 1-line block ×4, first 2 shown]
	global_load_dwordx2 v[143:144], v167, s[14:15]
	global_load_dwordx2 v[141:142], v167, s[14:15] offset:1296
	global_load_dwordx2 v[137:138], v167, s[14:15] offset:2592
	;; [unrolled: 1-line block ×3, first 2 shown]
	v_add_co_u32_e32 v2, vcc, s16, v6
	v_addc_co_u32_e32 v3, vcc, v7, v28, vcc
	s_movk_i32 s0, 0x1000
	v_add_co_u32_e32 v0, vcc, s0, v120
	v_addc_co_u32_e32 v1, vcc, 0, v121, vcc
	global_load_dwordx2 v[16:17], v[2:3], off
	v_add_co_u32_e32 v2, vcc, s16, v2
	v_addc_co_u32_e32 v3, vcc, v3, v28, vcc
	global_load_dwordx2 v[18:19], v[2:3], off
	v_add_co_u32_e32 v2, vcc, s16, v2
	v_addc_co_u32_e32 v3, vcc, v3, v28, vcc
	v_add_co_u32_e32 v4, vcc, s16, v2
	v_addc_co_u32_e32 v5, vcc, v3, v28, vcc
	s_movk_i32 s0, 0x2000
	global_load_dwordx2 v[20:21], v[2:3], off
	global_load_dwordx2 v[139:140], v[0:1], off offset:1088
	global_load_dwordx2 v[134:135], v[0:1], off offset:2384
	;; [unrolled: 1-line block ×3, first 2 shown]
	v_add_co_u32_e32 v2, vcc, s0, v120
	v_addc_co_u32_e32 v3, vcc, 0, v121, vcc
	global_load_dwordx2 v[22:23], v[4:5], off
	v_add_co_u32_e32 v4, vcc, s16, v4
	v_addc_co_u32_e32 v5, vcc, v5, v28, vcc
	global_load_dwordx2 v[24:25], v[4:5], off
	v_add_co_u32_e32 v4, vcc, s16, v4
	global_load_dwordx2 v[126:127], v[2:3], off offset:880
	v_addc_co_u32_e32 v5, vcc, v5, v28, vcc
	v_add_co_u32_e32 v6, vcc, s16, v4
	v_addc_co_u32_e32 v7, vcc, v5, v28, vcc
	s_movk_i32 s0, 0x3000
	global_load_dwordx2 v[26:27], v[4:5], off
	global_load_dwordx2 v[128:129], v[2:3], off offset:2176
	global_load_dwordx2 v[124:125], v[2:3], off offset:3472
	v_add_co_u32_e32 v4, vcc, s0, v120
	v_addc_co_u32_e32 v5, vcc, 0, v121, vcc
	global_load_dwordx2 v[28:29], v[6:7], off
	global_load_dwordx2 v[122:123], v[4:5], off offset:672
	s_load_dwordx2 s[6:7], s[4:5], 0x38
	s_load_dwordx4 s[8:11], s[18:19], 0x0
	v_cmp_gt_u16_e64 s[0:1], 63, v168
	s_waitcnt vmcnt(17)
	v_mul_f32_e32 v30, v9, v144
	v_fmac_f32_e32 v30, v8, v143
	v_mul_f32_e32 v8, v8, v144
	v_fma_f32 v31, v9, v143, -v8
	s_waitcnt vmcnt(16)
	v_mul_f32_e32 v8, v11, v142
	v_mul_f32_e32 v9, v10, v142
	v_fmac_f32_e32 v8, v10, v141
	v_fma_f32 v9, v11, v141, -v9
	ds_write2_b64 v167, v[30:31], v[8:9] offset1:162
	s_waitcnt vmcnt(15)
	v_mul_f32_e32 v8, v12, v138
	v_mul_f32_e32 v9, v13, v138
	v_fma_f32 v10, v13, v137, -v8
	s_waitcnt vmcnt(14)
	v_mul_f32_e32 v11, v15, v133
	v_mul_f32_e32 v8, v14, v133
	v_fmac_f32_e32 v9, v12, v137
	v_fmac_f32_e32 v11, v14, v132
	v_fma_f32 v12, v15, v132, -v8
	v_add_u32_e32 v8, 0x800, v167
	ds_write2_b64 v8, v[9:10], v[11:12] offset0:68 offset1:230
	s_waitcnt vmcnt(10)
	v_mul_f32_e32 v9, v16, v140
	v_mul_f32_e32 v10, v17, v140
	v_fma_f32 v11, v17, v139, -v9
	s_waitcnt vmcnt(9)
	v_mul_f32_e32 v12, v19, v135
	v_mul_f32_e32 v9, v18, v135
	v_fmac_f32_e32 v10, v16, v139
	v_fmac_f32_e32 v12, v18, v134
	v_fma_f32 v13, v19, v134, -v9
	v_add_u32_e32 v9, 0x1400, v167
	ds_write2_b64 v9, v[10:11], v[12:13] offset0:8 offset1:170
	s_waitcnt vmcnt(8)
	v_mul_f32_e32 v10, v20, v131
	v_mul_f32_e32 v11, v21, v131
	v_fma_f32 v12, v21, v130, -v10
	v_fmac_f32_e32 v11, v20, v130
	s_waitcnt vmcnt(5)
	v_mul_f32_e32 v13, v23, v127
	v_mul_f32_e32 v10, v22, v127
	v_fmac_f32_e32 v13, v22, v126
	v_fma_f32 v14, v23, v126, -v10
	v_add_u32_e32 v10, 0x1c00, v167
	ds_write2_b64 v10, v[11:12], v[13:14] offset0:76 offset1:238
	s_waitcnt vmcnt(3)
	v_mul_f32_e32 v11, v24, v129
	v_mul_f32_e32 v12, v25, v129
	v_fma_f32 v13, v25, v128, -v11
	s_waitcnt vmcnt(2)
	v_mul_f32_e32 v14, v27, v125
	v_mul_f32_e32 v11, v26, v125
	v_fmac_f32_e32 v12, v24, v128
	v_fmac_f32_e32 v14, v26, v124
	v_fma_f32 v15, v27, v124, -v11
	v_add_u32_e32 v11, 0x2800, v167
	ds_write2_b64 v11, v[12:13], v[14:15] offset0:16 offset1:178
	s_waitcnt vmcnt(0)
	v_mul_f32_e32 v12, v29, v123
	v_mul_f32_e32 v13, v28, v123
	v_fmac_f32_e32 v12, v28, v122
	v_fma_f32 v13, v29, v122, -v13
	ds_write_b64 v167, v[12:13] offset:12960
	s_and_saveexec_b64 s[18:19], s[0:1]
	s_cbranch_execz .LBB0_3
; %bb.2:
	v_mov_b32_e32 v12, 0xffffd078
	v_mad_u64_u32 v[6:7], s[20:21], s12, v12, v[6:7]
	s_mulk_i32 s13, 0xd078
	s_sub_i32 s12, s13, s12
	v_add_u32_e32 v7, s12, v7
	global_load_dwordx2 v[12:13], v[6:7], off
	global_load_dwordx2 v[14:15], v[120:121], off offset:792
	v_mov_b32_e32 v48, s17
	v_add_co_u32_e32 v6, vcc, s16, v6
	v_addc_co_u32_e32 v7, vcc, v7, v48, vcc
	global_load_dwordx2 v[16:17], v[6:7], off
	v_add_co_u32_e32 v6, vcc, s16, v6
	v_addc_co_u32_e32 v7, vcc, v7, v48, vcc
	global_load_dwordx2 v[18:19], v[6:7], off
	;; [unrolled: 3-line block ×3, first 2 shown]
	global_load_dwordx2 v[22:23], v[120:121], off offset:2088
	global_load_dwordx2 v[24:25], v[120:121], off offset:3384
	;; [unrolled: 1-line block ×3, first 2 shown]
	v_add_co_u32_e32 v6, vcc, s16, v6
	v_addc_co_u32_e32 v7, vcc, v7, v48, vcc
	global_load_dwordx2 v[28:29], v[6:7], off
	v_add_co_u32_e32 v6, vcc, s16, v6
	v_addc_co_u32_e32 v7, vcc, v7, v48, vcc
	global_load_dwordx2 v[30:31], v[6:7], off
	global_load_dwordx2 v[32:33], v[0:1], off offset:1880
	global_load_dwordx2 v[34:35], v[0:1], off offset:3176
	v_add_co_u32_e32 v0, vcc, s16, v6
	v_addc_co_u32_e32 v1, vcc, v7, v48, vcc
	global_load_dwordx2 v[6:7], v[0:1], off
	v_add_co_u32_e32 v0, vcc, s16, v0
	v_addc_co_u32_e32 v1, vcc, v1, v48, vcc
	global_load_dwordx2 v[36:37], v[2:3], off offset:376
	global_load_dwordx2 v[38:39], v[0:1], off
	global_load_dwordx2 v[40:41], v[2:3], off offset:1672
	v_add_co_u32_e32 v0, vcc, s16, v0
	v_addc_co_u32_e32 v1, vcc, v1, v48, vcc
	global_load_dwordx2 v[42:43], v[0:1], off
	global_load_dwordx2 v[44:45], v[2:3], off offset:2968
	v_add_co_u32_e32 v0, vcc, s16, v0
	v_addc_co_u32_e32 v1, vcc, v1, v48, vcc
	;; [unrolled: 4-line block ×3, first 2 shown]
	global_load_dwordx2 v[48:49], v[4:5], off offset:1464
	global_load_dwordx2 v[50:51], v[0:1], off
	v_add_u32_e32 v52, 0x200, v167
	v_add_u32_e32 v53, 0xc00, v167
	s_waitcnt vmcnt(20)
	v_mul_f32_e32 v0, v13, v15
	v_mul_f32_e32 v1, v12, v15
	v_fmac_f32_e32 v0, v12, v14
	v_fma_f32 v1, v13, v14, -v1
	s_waitcnt vmcnt(16)
	v_mul_f32_e32 v4, v17, v23
	v_mul_f32_e32 v5, v16, v23
	v_fmac_f32_e32 v4, v16, v22
	v_fma_f32 v5, v17, v22, -v5
	s_waitcnt vmcnt(15)
	v_mul_f32_e32 v12, v19, v25
	v_mul_f32_e32 v13, v18, v25
	ds_write2_b64 v52, v[0:1], v[4:5] offset0:35 offset1:197
	s_waitcnt vmcnt(14)
	v_mul_f32_e32 v0, v21, v27
	v_mul_f32_e32 v1, v20, v27
	v_fmac_f32_e32 v12, v18, v24
	v_fma_f32 v13, v19, v24, -v13
	v_fmac_f32_e32 v0, v20, v26
	v_fma_f32 v1, v21, v26, -v1
	s_waitcnt vmcnt(11)
	v_mul_f32_e32 v4, v29, v33
	v_mul_f32_e32 v5, v28, v33
	ds_write2_b64 v53, v[12:13], v[0:1] offset0:39 offset1:201
	s_waitcnt vmcnt(10)
	v_mul_f32_e32 v0, v31, v35
	v_mul_f32_e32 v1, v30, v35
	v_fmac_f32_e32 v4, v28, v32
	v_fma_f32 v5, v29, v32, -v5
	v_fmac_f32_e32 v0, v30, v34
	v_fma_f32 v1, v31, v34, -v1
	v_add_u32_e32 v12, 0x1600, v167
	ds_write2_b64 v12, v[4:5], v[0:1] offset0:43 offset1:205
	s_waitcnt vmcnt(8)
	v_mul_f32_e32 v0, v7, v37
	v_mul_f32_e32 v1, v6, v37
	s_waitcnt vmcnt(6)
	v_mul_f32_e32 v4, v39, v41
	v_mul_f32_e32 v5, v38, v41
	v_fmac_f32_e32 v0, v6, v36
	v_fma_f32 v1, v7, v36, -v1
	v_fmac_f32_e32 v4, v38, v40
	v_fma_f32 v5, v39, v40, -v5
	v_add_u32_e32 v6, 0x2000, v167
	ds_write2_b64 v6, v[0:1], v[4:5] offset0:47 offset1:209
	s_waitcnt vmcnt(2)
	v_mul_f32_e32 v4, v3, v47
	v_mul_f32_e32 v0, v43, v45
	;; [unrolled: 1-line block ×3, first 2 shown]
	v_fmac_f32_e32 v4, v2, v46
	v_mul_f32_e32 v2, v2, v47
	v_fmac_f32_e32 v0, v42, v44
	v_fma_f32 v1, v43, v44, -v1
	v_fma_f32 v5, v3, v46, -v2
	v_add_u32_e32 v2, 0x2a00, v167
	ds_write2_b64 v2, v[0:1], v[4:5] offset0:51 offset1:213
	s_waitcnt vmcnt(0)
	v_mul_f32_e32 v0, v51, v49
	v_mul_f32_e32 v1, v50, v49
	v_fmac_f32_e32 v0, v50, v48
	v_fma_f32 v1, v51, v48, -v1
	ds_write_b64 v167, v[0:1] offset:13752
.LBB0_3:
	s_or_b64 exec, exec, s[18:19]
	s_waitcnt lgkmcnt(0)
	s_barrier
	ds_read2_b64 v[36:39], v167 offset1:162
	ds_read2_b64 v[28:31], v8 offset0:68 offset1:230
	ds_read2_b64 v[0:3], v9 offset0:8 offset1:170
	;; [unrolled: 1-line block ×4, first 2 shown]
	ds_read_b64 v[42:43], v167 offset:12960
	s_load_dwordx2 s[4:5], s[4:5], 0x8
	v_mov_b32_e32 v8, 0
	v_mov_b32_e32 v9, 0
                                        ; implicit-def: $vgpr12
                                        ; implicit-def: $vgpr24
                                        ; implicit-def: $vgpr40
                                        ; implicit-def: $vgpr22
                                        ; implicit-def: $vgpr18
	s_and_saveexec_b64 s[12:13], s[0:1]
	s_cbranch_execz .LBB0_5
; %bb.4:
	v_add_u32_e32 v12, 0xc00, v167
	ds_read2_b64 v[16:19], v12 offset0:39 offset1:201
	v_add_u32_e32 v12, 0x1600, v167
	v_add_u32_e32 v8, 0x200, v167
	ds_read2_b64 v[20:23], v12 offset0:43 offset1:205
	v_add_u32_e32 v12, 0x2000, v167
	v_add_u32_e32 v24, 0x2a00, v167
	ds_read2_b64 v[8:11], v8 offset0:35 offset1:197
	ds_read2_b64 v[12:15], v12 offset0:47 offset1:209
	;; [unrolled: 1-line block ×3, first 2 shown]
	ds_read_b64 v[40:41], v167 offset:13752
.LBB0_5:
	s_or_b64 exec, exec, s[12:13]
	s_waitcnt lgkmcnt(0)
	v_add_f32_e32 v44, v36, v38
	v_add_f32_e32 v45, v37, v39
	;; [unrolled: 1-line block ×22, first 2 shown]
	v_sub_f32_e32 v38, v38, v42
	v_sub_f32_e32 v39, v39, v43
	v_mul_f32_e32 v42, 0xbf0a6770, v39
	s_mov_b32 s16, 0x3f575c64
	v_mul_f32_e32 v46, 0xbf0a6770, v38
	v_mul_f32_e32 v48, 0xbf68dda4, v39
	s_mov_b32 s17, 0x3ed4b147
	v_mul_f32_e32 v50, 0xbf68dda4, v38
	;; [unrolled: 3-line block ×5, first 2 shown]
	v_fma_f32 v43, v44, s16, -v42
	v_mov_b32_e32 v47, v46
	v_fmac_f32_e32 v42, 0x3f575c64, v44
	v_fma_f32 v49, v44, s17, -v48
	v_mov_b32_e32 v51, v50
	v_fmac_f32_e32 v48, 0x3ed4b147, v44
	v_fma_f32 v53, v44, s18, -v52
	v_mov_b32_e32 v55, v54
	v_fmac_f32_e32 v52, 0xbe11bafb, v44
	v_fma_f32 v57, v44, s19, -v56
	v_mov_b32_e32 v59, v58
	v_fmac_f32_e32 v56, 0xbf27a4f4, v44
	v_fma_f32 v60, v44, s20, -v39
	v_mov_b32_e32 v61, v38
	v_fmac_f32_e32 v39, 0xbf75a155, v44
	v_add_f32_e32 v43, v36, v43
	v_fmac_f32_e32 v47, 0x3f575c64, v45
	v_add_f32_e32 v42, v36, v42
	v_fma_f32 v46, v45, s16, -v46
	v_add_f32_e32 v49, v36, v49
	v_fmac_f32_e32 v51, 0x3ed4b147, v45
	v_add_f32_e32 v48, v36, v48
	v_fma_f32 v50, v45, s17, -v50
	;; [unrolled: 4-line block ×5, first 2 shown]
	v_add_f32_e32 v39, v35, v29
	v_sub_f32_e32 v29, v29, v35
	v_add_f32_e32 v47, v37, v47
	v_add_f32_e32 v46, v37, v46
	;; [unrolled: 1-line block ×11, first 2 shown]
	v_sub_f32_e32 v28, v28, v34
	v_mul_f32_e32 v34, 0xbf68dda4, v29
	v_fma_f32 v35, v38, s17, -v34
	v_add_f32_e32 v35, v35, v43
	v_mul_f32_e32 v43, 0xbf68dda4, v28
	v_fmac_f32_e32 v34, 0x3ed4b147, v38
	v_mov_b32_e32 v44, v43
	v_add_f32_e32 v34, v34, v42
	v_fma_f32 v42, v39, s17, -v43
	v_mul_f32_e32 v43, 0xbf4178ce, v29
	v_fmac_f32_e32 v44, 0x3ed4b147, v39
	v_add_f32_e32 v42, v42, v46
	v_fma_f32 v45, v38, s19, -v43
	v_mul_f32_e32 v46, 0xbf4178ce, v28
	v_fmac_f32_e32 v43, 0xbf27a4f4, v38
	v_add_f32_e32 v44, v44, v47
	v_mov_b32_e32 v47, v46
	v_add_f32_e32 v43, v43, v48
	v_fma_f32 v46, v39, s19, -v46
	v_mul_f32_e32 v48, 0x3e903f40, v29
	v_add_f32_e32 v45, v45, v49
	v_fmac_f32_e32 v47, 0xbf27a4f4, v39
	v_add_f32_e32 v46, v46, v50
	v_fma_f32 v49, v38, s20, -v48
	v_mul_f32_e32 v50, 0x3e903f40, v28
	v_fmac_f32_e32 v48, 0xbf75a155, v38
	v_add_f32_e32 v47, v47, v51
	v_mov_b32_e32 v51, v50
	v_add_f32_e32 v48, v48, v52
	v_fma_f32 v50, v39, s20, -v50
	v_mul_f32_e32 v52, 0x3f7d64f0, v29
	v_add_f32_e32 v49, v49, v53
	v_add_f32_e32 v50, v50, v54
	v_fma_f32 v53, v38, s18, -v52
	v_mul_f32_e32 v54, 0x3f7d64f0, v28
	v_mul_f32_e32 v28, 0x3f0a6770, v28
	v_add_f32_e32 v53, v53, v57
	v_fmac_f32_e32 v52, 0xbe11bafb, v38
	v_mul_f32_e32 v29, 0x3f0a6770, v29
	v_mov_b32_e32 v57, v28
	v_fma_f32 v28, v39, s16, -v28
	v_add_f32_e32 v52, v52, v56
	v_fma_f32 v56, v38, s16, -v29
	v_fmac_f32_e32 v29, 0x3f575c64, v38
	v_add_f32_e32 v28, v28, v37
	v_add_f32_e32 v37, v33, v31
	v_sub_f32_e32 v31, v31, v33
	v_add_f32_e32 v29, v29, v36
	v_add_f32_e32 v36, v32, v30
	v_sub_f32_e32 v30, v30, v32
	v_mul_f32_e32 v32, 0xbf7d64f0, v31
	v_fma_f32 v33, v36, s18, -v32
	v_fmac_f32_e32 v51, 0xbf75a155, v39
	v_add_f32_e32 v33, v33, v35
	v_mul_f32_e32 v35, 0xbf7d64f0, v30
	v_fmac_f32_e32 v32, 0xbe11bafb, v36
	v_add_f32_e32 v51, v51, v55
	v_mov_b32_e32 v55, v54
	v_mov_b32_e32 v38, v35
	v_add_f32_e32 v32, v32, v34
	v_fma_f32 v34, v37, s18, -v35
	v_mul_f32_e32 v35, 0x3e903f40, v31
	v_fmac_f32_e32 v55, 0xbe11bafb, v39
	v_fma_f32 v54, v39, s18, -v54
	v_fmac_f32_e32 v57, 0x3f575c64, v39
	v_fma_f32 v39, v36, s20, -v35
	v_fmac_f32_e32 v35, 0xbf75a155, v36
	v_fmac_f32_e32 v38, 0xbe11bafb, v37
	v_add_f32_e32 v34, v34, v42
	v_mul_f32_e32 v42, 0x3e903f40, v30
	v_add_f32_e32 v35, v35, v43
	v_mul_f32_e32 v43, 0x3f68dda4, v31
	v_add_f32_e32 v38, v38, v44
	v_add_f32_e32 v39, v39, v45
	v_mov_b32_e32 v44, v42
	v_fma_f32 v42, v37, s20, -v42
	v_fma_f32 v45, v36, s17, -v43
	v_fmac_f32_e32 v43, 0x3ed4b147, v36
	v_fmac_f32_e32 v44, 0xbf75a155, v37
	v_add_f32_e32 v42, v42, v46
	v_mul_f32_e32 v46, 0x3f68dda4, v30
	v_add_f32_e32 v43, v43, v48
	v_mul_f32_e32 v48, 0xbf0a6770, v31
	v_add_f32_e32 v44, v44, v47
	v_add_f32_e32 v45, v45, v49
	v_mov_b32_e32 v47, v46
	v_fma_f32 v46, v37, s17, -v46
	v_fma_f32 v49, v36, s16, -v48
	v_fmac_f32_e32 v48, 0x3f575c64, v36
	v_mul_f32_e32 v31, 0xbf4178ce, v31
	v_add_f32_e32 v46, v46, v50
	v_mul_f32_e32 v50, 0xbf0a6770, v30
	v_add_f32_e32 v48, v48, v52
	v_fma_f32 v52, v36, s19, -v31
	v_mul_f32_e32 v30, 0xbf4178ce, v30
	v_fmac_f32_e32 v31, 0xbf27a4f4, v36
	v_add_f32_e32 v49, v49, v53
	v_mov_b32_e32 v53, v30
	v_add_f32_e32 v29, v31, v29
	v_fma_f32 v30, v37, s19, -v30
	v_add_f32_e32 v31, v7, v1
	v_sub_f32_e32 v1, v1, v7
	v_add_f32_e32 v28, v30, v28
	v_add_f32_e32 v30, v6, v0
	v_sub_f32_e32 v0, v0, v6
	v_mul_f32_e32 v6, 0xbf4178ce, v1
	v_fma_f32 v7, v30, s19, -v6
	v_fmac_f32_e32 v47, 0x3ed4b147, v37
	v_add_f32_e32 v7, v7, v33
	v_mul_f32_e32 v33, 0xbf4178ce, v0
	v_fmac_f32_e32 v6, 0xbf27a4f4, v30
	v_add_f32_e32 v47, v47, v51
	v_mov_b32_e32 v51, v50
	v_mov_b32_e32 v36, v33
	v_add_f32_e32 v6, v6, v32
	v_fma_f32 v32, v31, s19, -v33
	v_mul_f32_e32 v33, 0x3f7d64f0, v1
	v_fmac_f32_e32 v51, 0x3f575c64, v37
	v_fma_f32 v50, v37, s16, -v50
	v_fmac_f32_e32 v53, 0xbf27a4f4, v37
	v_fmac_f32_e32 v36, 0xbf27a4f4, v31
	v_add_f32_e32 v32, v32, v34
	v_fma_f32 v34, v30, s18, -v33
	v_mul_f32_e32 v37, 0x3f7d64f0, v0
	v_fmac_f32_e32 v33, 0xbe11bafb, v30
	v_add_f32_e32 v36, v36, v38
	v_mov_b32_e32 v38, v37
	v_add_f32_e32 v33, v33, v35
	v_fma_f32 v35, v31, s18, -v37
	v_mul_f32_e32 v37, 0xbf0a6770, v1
	v_add_f32_e32 v34, v34, v39
	v_fma_f32 v39, v30, s16, -v37
	v_fmac_f32_e32 v37, 0x3f575c64, v30
	v_fmac_f32_e32 v38, 0xbe11bafb, v31
	v_add_f32_e32 v35, v35, v42
	v_mul_f32_e32 v42, 0xbf0a6770, v0
	v_add_f32_e32 v37, v37, v43
	v_mul_f32_e32 v43, 0xbe903f40, v1
	v_add_f32_e32 v38, v38, v44
	v_add_f32_e32 v39, v39, v45
	v_mov_b32_e32 v44, v42
	v_fma_f32 v42, v31, s16, -v42
	v_fma_f32 v45, v30, s20, -v43
	v_fmac_f32_e32 v43, 0xbf75a155, v30
	v_mul_f32_e32 v1, 0x3f68dda4, v1
	v_add_f32_e32 v42, v42, v46
	v_mul_f32_e32 v46, 0xbe903f40, v0
	v_add_f32_e32 v43, v43, v48
	v_fma_f32 v48, v30, s17, -v1
	v_mul_f32_e32 v0, 0x3f68dda4, v0
	v_fmac_f32_e32 v1, 0x3ed4b147, v30
	v_add_f32_e32 v45, v45, v49
	v_mov_b32_e32 v49, v0
	v_add_f32_e32 v1, v1, v29
	v_fma_f32 v0, v31, s17, -v0
	v_add_f32_e32 v29, v5, v3
	v_sub_f32_e32 v3, v3, v5
	v_add_f32_e32 v0, v0, v28
	v_add_f32_e32 v28, v4, v2
	v_sub_f32_e32 v2, v2, v4
	v_mul_f32_e32 v4, 0xbe903f40, v3
	v_fma_f32 v5, v28, s20, -v4
	v_add_f32_e32 v91, v5, v7
	v_mul_f32_e32 v5, 0xbe903f40, v2
	v_fmac_f32_e32 v4, 0xbf75a155, v28
	v_add_f32_e32 v93, v4, v6
	v_fma_f32 v4, v29, s20, -v5
	v_add_f32_e32 v94, v4, v32
	v_mul_f32_e32 v4, 0x3f0a6770, v3
	v_mov_b32_e32 v7, v5
	v_fma_f32 v5, v28, s16, -v4
	v_add_f32_e32 v95, v5, v34
	v_mul_f32_e32 v5, 0x3f0a6770, v2
	v_fmac_f32_e32 v4, 0x3f575c64, v28
	v_add_f32_e32 v97, v4, v33
	v_fma_f32 v4, v29, s16, -v5
	v_add_f32_e32 v98, v4, v35
	v_mul_f32_e32 v4, 0xbf4178ce, v3
	v_mov_b32_e32 v6, v5
	v_fma_f32 v5, v28, s19, -v4
	v_add_f32_e32 v99, v5, v39
	v_mul_f32_e32 v5, 0xbf4178ce, v2
	v_fmac_f32_e32 v4, 0xbf27a4f4, v28
	v_add_f32_e32 v101, v4, v37
	v_fma_f32 v4, v29, s19, -v5
	v_fmac_f32_e32 v6, 0x3f575c64, v29
	v_add_f32_e32 v102, v4, v42
	v_mul_f32_e32 v4, 0x3f68dda4, v3
	v_add_f32_e32 v54, v54, v58
	v_fmac_f32_e32 v44, 0x3f575c64, v31
	v_add_f32_e32 v96, v6, v38
	v_mov_b32_e32 v6, v5
	v_fma_f32 v5, v28, s17, -v4
	v_add_f32_e32 v56, v56, v60
	v_add_f32_e32 v50, v50, v54
	;; [unrolled: 1-line block ×3, first 2 shown]
	v_mov_b32_e32 v47, v46
	v_fma_f32 v46, v31, s20, -v46
	v_add_f32_e32 v103, v5, v45
	v_mul_f32_e32 v5, 0x3f68dda4, v2
	v_fmac_f32_e32 v4, 0x3ed4b147, v28
	v_add_f32_e32 v52, v52, v56
	v_add_f32_e32 v46, v46, v50
	;; [unrolled: 1-line block ×3, first 2 shown]
	v_fma_f32 v4, v29, s17, -v5
	v_mul_f32_e32 v3, 0xbf7d64f0, v3
	v_add_f32_e32 v57, v57, v61
	v_add_f32_e32 v48, v48, v52
	;; [unrolled: 1-line block ×3, first 2 shown]
	v_fma_f32 v4, v28, s18, -v3
	v_mul_f32_e32 v2, 0xbf7d64f0, v2
	v_add_f32_e32 v53, v53, v57
	v_fmac_f32_e32 v49, 0x3ed4b147, v31
	v_add_f32_e32 v107, v4, v48
	v_mov_b32_e32 v4, v2
	v_add_f32_e32 v49, v49, v53
	v_fmac_f32_e32 v4, 0xbe11bafb, v29
	v_sub_f32_e32 v50, v11, v41
	v_add_f32_e32 v108, v4, v49
	v_mul_f32_e32 v49, 0xbf4178ce, v50
	v_add_f32_e32 v55, v55, v59
	v_fmac_f32_e32 v6, 0xbf27a4f4, v29
	v_fmac_f32_e32 v3, 0xbe11bafb, v28
	v_add_f32_e32 v4, v40, v10
	v_sub_f32_e32 v59, v10, v40
	v_mov_b32_e32 v28, v49
	v_add_f32_e32 v51, v51, v55
	v_add_f32_e32 v100, v6, v44
	v_mov_b32_e32 v6, v5
	v_add_f32_e32 v109, v3, v1
	v_fma_f32 v1, v29, s18, -v2
	v_add_f32_e32 v5, v41, v11
	v_mul_f32_e32 v30, 0xbf0a6770, v50
	v_mul_f32_e32 v55, 0xbf4178ce, v59
	v_fmac_f32_e32 v28, 0xbf27a4f4, v4
	v_sub_f32_e32 v61, v17, v27
	v_add_f32_e32 v110, v1, v0
	v_mov_b32_e32 v0, v30
	v_add_f32_e32 v32, v28, v8
	v_fma_f32 v28, v5, s19, -v55
	v_mul_f32_e32 v35, 0xbf68dda4, v61
	v_fmac_f32_e32 v47, 0xbf75a155, v31
	v_mul_f32_e32 v31, 0xbf0a6770, v59
	v_fmac_f32_e32 v0, 0x3f575c64, v4
	v_add_f32_e32 v34, v28, v9
	v_add_f32_e32 v28, v26, v16
	v_sub_f32_e32 v68, v16, v26
	v_mov_b32_e32 v38, v35
	v_fmac_f32_e32 v7, 0xbf75a155, v29
	v_fmac_f32_e32 v6, 0x3ed4b147, v29
	v_add_f32_e32 v0, v0, v8
	v_fma_f32 v1, v5, s16, -v31
	v_mul_f32_e32 v33, 0xbf68dda4, v50
	v_add_f32_e32 v29, v27, v17
	v_mul_f32_e32 v37, 0xbf68dda4, v68
	v_fmac_f32_e32 v38, 0x3ed4b147, v28
	v_add_f32_e32 v1, v1, v9
	v_mov_b32_e32 v2, v33
	v_add_f32_e32 v0, v38, v0
	v_fma_f32 v38, v29, s17, -v37
	v_mul_f32_e32 v42, 0xbf4178ce, v61
	v_add_f32_e32 v92, v7, v36
	v_mul_f32_e32 v36, 0xbf68dda4, v59
	v_fmac_f32_e32 v2, 0x3ed4b147, v4
	v_add_f32_e32 v1, v38, v1
	v_mov_b32_e32 v38, v42
	v_add_f32_e32 v47, v47, v51
	v_add_f32_e32 v2, v2, v8
	v_fma_f32 v3, v5, s17, -v36
	v_mul_f32_e32 v39, 0xbf7d64f0, v50
	v_mul_f32_e32 v46, 0xbf4178ce, v68
	v_fmac_f32_e32 v38, 0xbf27a4f4, v28
	v_add_f32_e32 v104, v6, v47
	v_add_f32_e32 v3, v3, v9
	v_mov_b32_e32 v6, v39
	v_add_f32_e32 v2, v38, v2
	v_fma_f32 v38, v29, s19, -v46
	v_mul_f32_e32 v51, 0x3e903f40, v61
	v_mul_f32_e32 v45, 0xbf7d64f0, v59
	v_fmac_f32_e32 v6, 0xbe11bafb, v4
	v_add_f32_e32 v3, v38, v3
	v_mov_b32_e32 v38, v51
	v_add_f32_e32 v6, v6, v8
	v_fma_f32 v7, v5, s18, -v45
	v_mul_f32_e32 v56, 0x3e903f40, v68
	v_fmac_f32_e32 v38, 0xbf75a155, v28
	v_add_f32_e32 v7, v7, v9
	v_add_f32_e32 v6, v38, v6
	v_fma_f32 v38, v29, s20, -v56
	v_mul_f32_e32 v60, 0x3f7d64f0, v61
	v_add_f32_e32 v7, v38, v7
	v_mov_b32_e32 v38, v60
	v_mul_f32_e32 v65, 0x3f7d64f0, v68
	v_fmac_f32_e32 v38, 0xbe11bafb, v28
	v_sub_f32_e32 v71, v19, v25
	v_add_f32_e32 v38, v38, v32
	v_fma_f32 v32, v29, s18, -v65
	v_mul_f32_e32 v44, 0xbf7d64f0, v71
	v_add_f32_e32 v43, v32, v34
	v_add_f32_e32 v32, v24, v18
	v_sub_f32_e32 v77, v18, v24
	v_mov_b32_e32 v48, v44
	v_add_f32_e32 v34, v25, v19
	v_mul_f32_e32 v47, 0xbf7d64f0, v77
	v_fmac_f32_e32 v48, 0xbe11bafb, v32
	v_add_f32_e32 v0, v48, v0
	v_fma_f32 v48, v34, s18, -v47
	v_mul_f32_e32 v52, 0x3e903f40, v71
	v_add_f32_e32 v1, v48, v1
	v_mov_b32_e32 v48, v52
	v_mul_f32_e32 v57, 0x3e903f40, v77
	v_fmac_f32_e32 v48, 0xbf75a155, v32
	v_add_f32_e32 v2, v48, v2
	v_fma_f32 v48, v34, s20, -v57
	v_mul_f32_e32 v62, 0x3f68dda4, v71
	v_add_f32_e32 v3, v48, v3
	v_mov_b32_e32 v48, v62
	;; [unrolled: 7-line block ×3, first 2 shown]
	v_mul_f32_e32 v74, 0xbf0a6770, v77
	v_fmac_f32_e32 v48, 0x3f575c64, v32
	v_sub_f32_e32 v78, v21, v15
	v_add_f32_e32 v48, v48, v38
	v_fma_f32 v38, v34, s16, -v74
	v_mul_f32_e32 v54, 0xbf4178ce, v78
	v_add_f32_e32 v53, v38, v43
	v_add_f32_e32 v38, v14, v20
	v_sub_f32_e32 v84, v20, v14
	v_mov_b32_e32 v63, v54
	v_add_f32_e32 v43, v15, v21
	v_mul_f32_e32 v58, 0xbf4178ce, v84
	v_fmac_f32_e32 v63, 0xbf27a4f4, v38
	v_add_f32_e32 v0, v63, v0
	v_fma_f32 v63, v43, s19, -v58
	v_add_f32_e32 v1, v63, v1
	v_mul_f32_e32 v63, 0x3f7d64f0, v78
	v_mov_b32_e32 v64, v63
	v_mul_f32_e32 v67, 0x3f7d64f0, v84
	v_fmac_f32_e32 v64, 0xbe11bafb, v38
	v_add_f32_e32 v2, v64, v2
	v_fma_f32 v64, v43, s18, -v67
	v_mul_f32_e32 v72, 0xbf0a6770, v78
	v_add_f32_e32 v3, v64, v3
	v_mov_b32_e32 v64, v72
	v_mul_f32_e32 v75, 0xbf0a6770, v84
	v_fmac_f32_e32 v64, 0x3f575c64, v38
	v_add_f32_e32 v6, v64, v6
	v_fma_f32 v64, v43, s16, -v75
	v_mul_f32_e32 v79, 0xbe903f40, v78
	v_add_f32_e32 v7, v64, v7
	v_mov_b32_e32 v64, v79
	v_mul_f32_e32 v82, 0xbe903f40, v84
	v_fmac_f32_e32 v64, 0xbf75a155, v38
	v_sub_f32_e32 v85, v23, v13
	v_add_f32_e32 v111, v64, v48
	v_fma_f32 v48, v43, s20, -v82
	v_mul_f32_e32 v64, 0xbe903f40, v85
	v_add_f32_e32 v112, v48, v53
	v_add_f32_e32 v48, v12, v22
	v_sub_f32_e32 v88, v22, v12
	v_mov_b32_e32 v73, v64
	v_add_f32_e32 v53, v13, v23
	v_mul_f32_e32 v69, 0xbe903f40, v88
	v_fmac_f32_e32 v73, 0xbf75a155, v48
	v_add_f32_e32 v145, v73, v0
	v_fma_f32 v0, v53, s20, -v69
	v_mul_f32_e32 v73, 0x3f0a6770, v85
	v_add_f32_e32 v146, v0, v1
	v_mov_b32_e32 v0, v73
	v_mul_f32_e32 v76, 0x3f0a6770, v88
	v_fmac_f32_e32 v0, 0x3f575c64, v48
	v_add_f32_e32 v2, v0, v2
	v_fma_f32 v0, v53, s16, -v76
	v_mul_f32_e32 v81, 0xbf4178ce, v85
	v_add_f32_e32 v3, v0, v3
	v_mov_b32_e32 v0, v81
	v_fmac_f32_e32 v0, 0xbf27a4f4, v48
	v_mul_f32_e32 v86, 0x3f68dda4, v85
	v_mul_f32_e32 v83, 0xbf4178ce, v88
	v_add_f32_e32 v0, v0, v6
	v_mov_b32_e32 v6, v86
	s_movk_i32 s14, 0x63
	v_fma_f32 v1, v53, s19, -v83
	v_mul_f32_e32 v87, 0x3f68dda4, v88
	v_fmac_f32_e32 v6, 0x3ed4b147, v48
	v_add_co_u32_e32 v80, vcc, s14, v168
	v_add_f32_e32 v1, v1, v7
	v_add_f32_e32 v6, v6, v111
	v_fma_f32 v7, v53, s17, -v87
	v_mul_lo_u16_e32 v111, 11, v168
	v_add_f32_e32 v7, v7, v112
	v_lshlrev_b32_e32 v176, 3, v111
	v_mul_u32_u24_e32 v169, 11, v80
	s_barrier
	ds_write2_b64 v176, v[89:90], v[91:92] offset1:1
	ds_write2_b64 v176, v[95:96], v[99:100] offset0:2 offset1:3
	ds_write2_b64 v176, v[103:104], v[107:108] offset0:4 offset1:5
	;; [unrolled: 1-line block ×4, first 2 shown]
	ds_write_b64 v176, v[93:94] offset:80
	s_and_saveexec_b64 s[12:13], s[0:1]
	s_cbranch_execz .LBB0_7
; %bb.6:
	v_mul_f32_e32 v59, 0xbe903f40, v59
	v_mov_b32_e32 v89, v59
	v_mul_f32_e32 v68, 0x3f0a6770, v68
	v_fmac_f32_e32 v89, 0xbf75a155, v5
	v_mov_b32_e32 v157, v68
	v_add_f32_e32 v89, v89, v9
	v_fmac_f32_e32 v157, 0x3f575c64, v29
	v_mul_f32_e32 v77, 0xbf4178ce, v77
	v_add_f32_e32 v89, v157, v89
	v_mov_b32_e32 v157, v77
	v_fmac_f32_e32 v157, 0xbf27a4f4, v34
	v_mul_f32_e32 v84, 0x3f68dda4, v84
	v_add_f32_e32 v89, v157, v89
	v_mov_b32_e32 v157, v84
	v_fmac_f32_e32 v157, 0x3ed4b147, v43
	v_add_f32_e32 v89, v157, v89
	v_mul_f32_e32 v157, 0xbf7d64f0, v88
	v_mov_b32_e32 v88, v157
	v_mul_f32_e32 v158, 0xbe903f40, v50
	v_fmac_f32_e32 v88, 0xbe11bafb, v53
	v_fma_f32 v50, v4, s20, -v158
	v_mul_f32_e32 v61, 0x3f0a6770, v61
	v_add_f32_e32 v89, v88, v89
	v_add_f32_e32 v50, v50, v8
	v_fma_f32 v88, v28, s16, -v61
	v_mul_f32_e32 v71, 0xbf4178ce, v71
	v_add_f32_e32 v50, v88, v50
	v_fma_f32 v88, v32, s19, -v71
	v_mul_f32_e32 v78, 0x3f68dda4, v78
	;; [unrolled: 3-line block ×3, first 2 shown]
	v_mul_f32_e32 v97, 0xbf27a4f4, v5
	v_add_f32_e32 v50, v88, v50
	v_fma_f32 v88, v48, s18, -v85
	v_mul_f32_e32 v105, 0xbe11bafb, v29
	v_add_f32_e32 v88, v88, v50
	v_add_f32_e32 v50, v55, v97
	v_mul_f32_e32 v113, 0x3f575c64, v34
	v_add_f32_e32 v50, v50, v9
	v_add_f32_e32 v55, v65, v105
	;; [unrolled: 3-line block ×3, first 2 shown]
	v_mul_f32_e32 v96, 0xbf27a4f4, v4
	v_mul_f32_e32 v156, 0x3ed4b147, v53
	v_add_f32_e32 v50, v55, v50
	v_add_f32_e32 v55, v82, v148
	v_mul_f32_e32 v104, 0xbe11bafb, v28
	v_add_f32_e32 v50, v55, v50
	v_add_f32_e32 v55, v87, v156
	v_sub_f32_e32 v49, v96, v49
	v_mul_f32_e32 v112, 0x3f575c64, v32
	v_add_f32_e32 v50, v55, v50
	v_add_f32_e32 v49, v49, v8
	v_sub_f32_e32 v55, v104, v60
	v_mul_f32_e32 v147, 0xbf75a155, v38
	v_add_f32_e32 v49, v55, v49
	v_sub_f32_e32 v55, v112, v70
	v_mul_f32_e32 v95, 0xbe11bafb, v5
	v_mul_f32_e32 v155, 0x3ed4b147, v48
	v_add_f32_e32 v49, v55, v49
	v_sub_f32_e32 v55, v147, v79
	v_mul_f32_e32 v103, 0xbf75a155, v29
	v_add_f32_e32 v49, v55, v49
	v_sub_f32_e32 v55, v155, v86
	v_add_f32_e32 v45, v45, v95
	v_mul_f32_e32 v111, 0x3ed4b147, v34
	v_add_f32_e32 v49, v55, v49
	v_add_f32_e32 v45, v45, v9
	;; [unrolled: 1-line block ×3, first 2 shown]
	v_mul_f32_e32 v119, 0x3f575c64, v43
	v_add_f32_e32 v45, v55, v45
	v_add_f32_e32 v55, v66, v111
	v_mul_f32_e32 v94, 0xbe11bafb, v4
	v_mul_f32_e32 v154, 0xbf27a4f4, v53
	v_add_f32_e32 v45, v55, v45
	v_add_f32_e32 v55, v75, v119
	v_mul_f32_e32 v102, 0xbf75a155, v28
	v_add_f32_e32 v45, v55, v45
	v_add_f32_e32 v55, v83, v154
	v_sub_f32_e32 v39, v94, v39
	v_mul_f32_e32 v110, 0x3ed4b147, v32
	v_add_f32_e32 v56, v55, v45
	v_add_f32_e32 v39, v39, v8
	v_sub_f32_e32 v45, v102, v51
	v_mul_f32_e32 v118, 0x3f575c64, v38
	v_add_f32_e32 v39, v45, v39
	v_sub_f32_e32 v45, v110, v62
	v_mul_f32_e32 v93, 0x3ed4b147, v5
	v_mul_f32_e32 v153, 0xbf27a4f4, v48
	v_add_f32_e32 v39, v45, v39
	v_sub_f32_e32 v45, v118, v72
	v_mul_f32_e32 v101, 0xbf27a4f4, v29
	v_add_f32_e32 v39, v45, v39
	v_sub_f32_e32 v45, v153, v81
	v_add_f32_e32 v36, v36, v93
	v_mul_f32_e32 v109, 0xbf75a155, v34
	v_add_f32_e32 v55, v45, v39
	v_add_f32_e32 v36, v36, v9
	;; [unrolled: 1-line block ×3, first 2 shown]
	v_mul_f32_e32 v117, 0xbe11bafb, v43
	v_add_f32_e32 v36, v39, v36
	v_add_f32_e32 v39, v57, v109
	v_mul_f32_e32 v92, 0x3ed4b147, v4
	v_mul_f32_e32 v152, 0x3f575c64, v53
	v_add_f32_e32 v36, v39, v36
	v_add_f32_e32 v39, v67, v117
	v_mul_f32_e32 v100, 0xbf27a4f4, v28
	v_add_f32_e32 v36, v39, v36
	v_add_f32_e32 v39, v76, v152
	v_sub_f32_e32 v33, v92, v33
	v_mul_f32_e32 v108, 0xbf75a155, v32
	v_add_f32_e32 v46, v39, v36
	v_add_f32_e32 v33, v33, v8
	v_sub_f32_e32 v36, v100, v42
	v_mul_f32_e32 v116, 0xbe11bafb, v38
	v_add_f32_e32 v33, v36, v33
	v_sub_f32_e32 v36, v108, v52
	v_mul_f32_e32 v91, 0x3f575c64, v5
	v_mul_f32_e32 v151, 0x3f575c64, v48
	v_add_f32_e32 v33, v36, v33
	v_sub_f32_e32 v36, v116, v63
	v_mul_f32_e32 v99, 0x3ed4b147, v29
	v_add_f32_e32 v33, v36, v33
	v_sub_f32_e32 v36, v151, v73
	v_add_f32_e32 v31, v31, v91
	v_add_f32_e32 v11, v11, v9
	;; [unrolled: 1-line block ×3, first 2 shown]
	v_mul_f32_e32 v107, 0xbe11bafb, v34
	v_add_f32_e32 v45, v36, v33
	v_add_f32_e32 v31, v31, v9
	;; [unrolled: 1-line block ×5, first 2 shown]
	v_mul_f32_e32 v115, 0xbf27a4f4, v43
	v_add_f32_e32 v31, v33, v31
	v_add_f32_e32 v33, v47, v107
	;; [unrolled: 1-line block ×4, first 2 shown]
	v_mul_f32_e32 v90, 0x3f575c64, v4
	v_mul_f32_e32 v150, 0xbf75a155, v53
	v_add_f32_e32 v31, v33, v31
	v_add_f32_e32 v33, v58, v115
	;; [unrolled: 1-line block ×4, first 2 shown]
	v_mul_f32_e32 v98, 0x3ed4b147, v28
	v_add_f32_e32 v31, v33, v31
	v_add_f32_e32 v33, v69, v150
	v_sub_f32_e32 v30, v90, v30
	v_add_f32_e32 v11, v23, v11
	v_add_f32_e32 v10, v22, v10
	v_mul_f32_e32 v106, 0xbe11bafb, v32
	v_add_f32_e32 v31, v33, v31
	v_add_f32_e32 v30, v30, v8
	v_sub_f32_e32 v33, v98, v35
	v_add_f32_e32 v11, v13, v11
	v_add_f32_e32 v10, v12, v10
	v_fma_f32 v5, v5, s20, -v59
	v_fmac_f32_e32 v158, 0xbf75a155, v4
	v_mul_f32_e32 v114, 0xbf27a4f4, v38
	v_add_f32_e32 v30, v33, v30
	v_sub_f32_e32 v33, v106, v44
	v_add_f32_e32 v11, v15, v11
	v_add_f32_e32 v10, v14, v10
	;; [unrolled: 1-line block ×3, first 2 shown]
	v_fma_f32 v9, v29, s16, -v68
	v_add_f32_e32 v4, v158, v8
	v_fmac_f32_e32 v61, 0x3f575c64, v28
	v_mul_f32_e32 v149, 0xbf75a155, v48
	v_add_f32_e32 v30, v33, v30
	v_sub_f32_e32 v33, v114, v54
	v_add_f32_e32 v11, v25, v11
	v_add_f32_e32 v10, v24, v10
	;; [unrolled: 1-line block ×3, first 2 shown]
	v_fma_f32 v9, v34, s19, -v77
	v_add_f32_e32 v4, v61, v4
	v_fmac_f32_e32 v71, 0xbf27a4f4, v32
	v_add_f32_e32 v30, v33, v30
	v_sub_f32_e32 v33, v149, v64
	v_add_f32_e32 v11, v27, v11
	v_add_f32_e32 v10, v26, v10
	;; [unrolled: 1-line block ×3, first 2 shown]
	v_fma_f32 v9, v43, s17, -v84
	v_add_f32_e32 v4, v71, v4
	v_fmac_f32_e32 v78, 0x3ed4b147, v38
	v_add_f32_e32 v30, v33, v30
	v_add_f32_e32 v11, v41, v11
	;; [unrolled: 1-line block ×4, first 2 shown]
	v_fma_f32 v9, v53, s18, -v157
	v_add_f32_e32 v4, v78, v4
	v_fmac_f32_e32 v85, 0xbe11bafb, v48
	v_lshlrev_b32_e32 v8, 3, v169
	v_add_f32_e32 v5, v9, v5
	v_add_f32_e32 v4, v85, v4
	ds_write2_b64 v8, v[10:11], v[30:31] offset1:1
	ds_write2_b64 v8, v[45:46], v[55:56] offset0:2 offset1:3
	ds_write2_b64 v8, v[49:50], v[88:89] offset0:4 offset1:5
	;; [unrolled: 1-line block ×4, first 2 shown]
	ds_write_b64 v8, v[145:146] offset:80
.LBB0_7:
	s_or_b64 exec, exec, s[12:13]
	s_movk_i32 s12, 0x75
	v_mul_lo_u16_sdwa v4, v168, s12 dst_sel:DWORD dst_unused:UNUSED_PAD src0_sel:BYTE_0 src1_sel:DWORD
	v_sub_u16_sdwa v5, v168, v4 dst_sel:DWORD dst_unused:UNUSED_PAD src0_sel:DWORD src1_sel:BYTE_1
	v_lshrrev_b16_e32 v5, 1, v5
	v_and_b32_e32 v5, 0x7f, v5
	v_mul_lo_u16_sdwa v8, v80, s12 dst_sel:DWORD dst_unused:UNUSED_PAD src0_sel:BYTE_0 src1_sel:DWORD
	s_mov_b32 s12, 0xba2f
	v_add_u32_e32 v64, 0x129, v168
	v_add_u16_sdwa v4, v5, v4 dst_sel:DWORD dst_unused:UNUSED_PAD src0_sel:DWORD src1_sel:BYTE_1
	v_sub_u16_sdwa v9, v80, v8 dst_sel:DWORD dst_unused:UNUSED_PAD src0_sel:DWORD src1_sel:BYTE_1
	v_mul_u32_u24_sdwa v20, v64, s12 dst_sel:DWORD dst_unused:UNUSED_PAD src0_sel:WORD_0 src1_sel:DWORD
	v_lshrrev_b16_e32 v5, 3, v4
	v_lshrrev_b16_e32 v9, 1, v9
	v_lshrrev_b32_e32 v81, 19, v20
	v_mul_lo_u16_e32 v4, 11, v5
	v_and_b32_e32 v9, 0x7f, v9
	v_mul_lo_u16_e32 v20, 11, v81
	v_add_u32_e32 v68, 0x18c, v168
	v_sub_u16_e32 v4, v168, v4
	v_add_u16_sdwa v8, v9, v8 dst_sel:DWORD dst_unused:UNUSED_PAD src0_sel:DWORD src1_sel:BYTE_1
	v_sub_u16_e32 v82, v64, v20
	v_mul_u32_u24_sdwa v24, v68, s12 dst_sel:DWORD dst_unused:UNUSED_PAD src0_sel:WORD_0 src1_sel:DWORD
	v_and_b32_e32 v67, 0xff, v4
	v_lshrrev_b16_e32 v71, 3, v8
	v_lshlrev_b16_e32 v20, 1, v82
	v_lshrrev_b32_e32 v83, 19, v24
	v_lshlrev_b32_e32 v4, 4, v67
	v_mul_lo_u16_e32 v8, 11, v71
	v_lshlrev_b32_e32 v20, 3, v20
	v_mul_lo_u16_e32 v24, 11, v83
	s_waitcnt lgkmcnt(0)
	s_barrier
	global_load_dwordx4 v[12:15], v4, s[4:5]
	v_sub_u16_e32 v84, v68, v24
	global_load_dwordx4 v[20:23], v20, s[4:5]
	v_sub_u16_e32 v4, v80, v8
	v_and_b32_e32 v77, 0xff, v4
	v_lshlrev_b16_e32 v24, 1, v84
	v_lshlrev_b32_e32 v4, 4, v77
	v_lshlrev_b32_e32 v24, 3, v24
	global_load_dwordx4 v[8:11], v4, s[4:5]
	v_add_u32_e32 v72, 0x1ef, v168
	global_load_dwordx4 v[24:27], v24, s[4:5]
	v_add_co_u32_e32 v4, vcc, 0xc6, v168
	v_mul_u32_u24_sdwa v16, v4, s12 dst_sel:DWORD dst_unused:UNUSED_PAD src0_sel:WORD_0 src1_sel:DWORD
	v_lshrrev_b32_e32 v78, 19, v16
	v_mul_lo_u16_e32 v16, 11, v78
	v_sub_u16_e32 v79, v4, v16
	v_lshlrev_b16_e32 v16, 1, v79
	v_lshlrev_b32_e32 v16, 3, v16
	global_load_dwordx4 v[16:19], v16, s[4:5]
	v_mul_u32_u24_sdwa v28, v72, s12 dst_sel:DWORD dst_unused:UNUSED_PAD src0_sel:WORD_0 src1_sel:DWORD
	v_lshrrev_b32_e32 v85, 19, v28
	v_mul_lo_u16_e32 v28, 11, v85
	v_sub_u16_e32 v86, v72, v28
	v_lshlrev_b16_e32 v28, 1, v86
	v_lshlrev_b32_e32 v28, 3, v28
	global_load_dwordx4 v[28:31], v28, s[4:5]
	v_add_u32_e32 v103, 0x1000, v167
	ds_read2_b64 v[32:35], v167 offset1:99
	v_add_u32_e32 v105, 0x2400, v167
	v_add_u32_e32 v106, 0x400, v167
	;; [unrolled: 1-line block ×7, first 2 shown]
	ds_read2_b64 v[36:39], v103 offset0:82 offset1:181
	ds_read2_b64 v[40:43], v105 offset0:36 offset1:135
	ds_read2_b64 v[44:47], v106 offset0:70 offset1:169
	ds_read2_b64 v[48:51], v100 offset0:24 offset1:123
	ds_read2_b64 v[52:55], v112 offset0:106 offset1:205
	ds_read2_b64 v[56:59], v102 offset0:140 offset1:239
	ds_read2_b64 v[60:63], v104 offset0:94 offset1:193
	ds_read2_b64 v[73:76], v101 offset0:48 offset1:147
	v_mul_u32_u24_e32 v5, 33, v5
	v_add_lshl_u32 v170, v5, v67, 3
	v_mul_u32_u24_e32 v5, 33, v71
	v_add_lshl_u32 v171, v5, v77, 3
	v_mad_legacy_u16 v5, v78, 33, v79
	v_lshlrev_b32_e32 v172, 3, v5
	v_mad_legacy_u16 v5, v81, 33, v82
	v_lshlrev_b32_e32 v173, 3, v5
	;; [unrolled: 2-line block ×3, first 2 shown]
	v_mad_legacy_u16 v5, v85, 33, v86
	s_movk_i32 s12, 0xf9
	s_waitcnt vmcnt(0) lgkmcnt(0)
	s_barrier
	v_lshlrev_b32_e32 v175, 3, v5
	v_mul_lo_u16_sdwa v5, v168, s12 dst_sel:DWORD dst_unused:UNUSED_PAD src0_sel:BYTE_0 src1_sel:DWORD
	v_lshrrev_b16_e32 v67, 13, v5
	v_mul_lo_u16_e32 v5, 33, v67
	v_sub_u16_e32 v5, v168, v5
	v_and_b32_e32 v71, 0xff, v5
	v_lshlrev_b32_e32 v5, 4, v71
	v_mul_u32_u24_e32 v67, 0x63, v67
	v_add_lshl_u32 v177, v67, v71, 3
	v_mul_f32_e32 v65, v37, v13
	v_mul_f32_e32 v66, v36, v13
	;; [unrolled: 1-line block ×3, first 2 shown]
	v_fma_f32 v65, v36, v12, -v65
	v_mul_f32_e32 v70, v40, v15
	v_fma_f32 v40, v40, v14, -v69
	v_fmac_f32_e32 v66, v37, v12
	v_add_f32_e32 v37, v65, v40
	v_mul_f32_e32 v87, v39, v9
	v_mul_f32_e32 v89, v43, v11
	v_fma_f32 v69, v38, v8, -v87
	v_fma_f32 v87, v42, v10, -v89
	v_mul_f32_e32 v88, v38, v9
	v_fmac_f32_e32 v70, v41, v14
	v_fmac_f32_e32 v88, v39, v8
	v_add_f32_e32 v39, v66, v70
	v_mul_f32_e32 v90, v42, v11
	v_add_f32_e32 v41, v69, v87
	v_fmac_f32_e32 v90, v43, v10
	v_mul_f32_e32 v36, v49, v17
	v_fma_f32 v89, v48, v16, -v36
	v_mul_f32_e32 v36, v53, v19
	v_fma_f32 v92, v52, v18, -v36
	v_mul_f32_e32 v36, v51, v21
	v_fma_f32 v93, v50, v20, -v36
	v_mul_f32_e32 v36, v55, v23
	v_fma_f32 v95, v54, v22, -v36
	v_mul_f32_e32 v36, v61, v25
	v_fma_f32 v97, v60, v24, -v36
	v_mul_f32_e32 v36, v74, v27
	v_fma_f32 v99, v73, v26, -v36
	v_mul_f32_e32 v73, v73, v27
	v_mul_f32_e32 v36, v63, v29
	v_fmac_f32_e32 v73, v74, v26
	v_fma_f32 v74, v62, v28, -v36
	v_mul_f32_e32 v36, v76, v31
	v_fma_f32 v108, v75, v30, -v36
	v_add_f32_e32 v36, v32, v65
	v_fma_f32 v32, -0.5, v37, v32
	v_sub_f32_e32 v37, v66, v70
	v_mov_b32_e32 v38, v32
	v_fmac_f32_e32 v38, 0x3f5db3d7, v37
	v_fmac_f32_e32 v32, 0xbf5db3d7, v37
	v_add_f32_e32 v37, v33, v66
	v_fma_f32 v33, -0.5, v39, v33
	v_add_f32_e32 v36, v36, v40
	v_sub_f32_e32 v40, v65, v40
	v_mov_b32_e32 v39, v33
	v_fmac_f32_e32 v39, 0xbf5db3d7, v40
	v_fmac_f32_e32 v33, 0x3f5db3d7, v40
	v_add_f32_e32 v40, v34, v69
	v_fma_f32 v34, -0.5, v41, v34
	v_sub_f32_e32 v41, v88, v90
	v_mov_b32_e32 v42, v34
	v_add_f32_e32 v43, v88, v90
	v_mul_f32_e32 v91, v48, v17
	v_fmac_f32_e32 v42, 0x3f5db3d7, v41
	v_fmac_f32_e32 v34, 0xbf5db3d7, v41
	v_add_f32_e32 v41, v35, v88
	v_fmac_f32_e32 v35, -0.5, v43
	v_fmac_f32_e32 v91, v49, v16
	v_mul_f32_e32 v52, v52, v19
	v_sub_f32_e32 v48, v69, v87
	v_mov_b32_e32 v43, v35
	v_add_f32_e32 v49, v89, v92
	v_fmac_f32_e32 v52, v53, v18
	v_mul_f32_e32 v94, v50, v21
	v_fmac_f32_e32 v43, 0xbf5db3d7, v48
	v_fmac_f32_e32 v35, 0x3f5db3d7, v48
	v_add_f32_e32 v48, v44, v89
	v_fma_f32 v44, -0.5, v49, v44
	v_fmac_f32_e32 v94, v51, v20
	v_sub_f32_e32 v49, v91, v52
	v_mov_b32_e32 v50, v44
	v_add_f32_e32 v51, v91, v52
	v_fmac_f32_e32 v50, 0x3f5db3d7, v49
	v_fmac_f32_e32 v44, 0xbf5db3d7, v49
	v_add_f32_e32 v49, v45, v91
	v_fma_f32 v45, -0.5, v51, v45
	v_mul_f32_e32 v96, v54, v23
	v_add_f32_e32 v49, v49, v52
	v_sub_f32_e32 v52, v89, v92
	v_mov_b32_e32 v51, v45
	v_add_f32_e32 v53, v93, v95
	v_fmac_f32_e32 v96, v55, v22
	v_fmac_f32_e32 v51, 0xbf5db3d7, v52
	;; [unrolled: 1-line block ×3, first 2 shown]
	v_add_f32_e32 v52, v46, v93
	v_fma_f32 v46, -0.5, v53, v46
	v_sub_f32_e32 v53, v94, v96
	v_mov_b32_e32 v54, v46
	v_add_f32_e32 v55, v94, v96
	v_mul_f32_e32 v98, v60, v25
	v_fmac_f32_e32 v54, 0x3f5db3d7, v53
	v_fmac_f32_e32 v46, 0xbf5db3d7, v53
	v_add_f32_e32 v53, v47, v94
	v_fmac_f32_e32 v47, -0.5, v55
	v_fmac_f32_e32 v98, v61, v24
	v_sub_f32_e32 v60, v93, v95
	v_mov_b32_e32 v55, v47
	v_add_f32_e32 v61, v97, v99
	v_mul_f32_e32 v107, v62, v29
	v_fmac_f32_e32 v55, 0xbf5db3d7, v60
	v_fmac_f32_e32 v47, 0x3f5db3d7, v60
	v_add_f32_e32 v60, v56, v97
	v_fma_f32 v56, -0.5, v61, v56
	v_fmac_f32_e32 v107, v63, v28
	v_sub_f32_e32 v61, v98, v73
	v_mov_b32_e32 v62, v56
	v_add_f32_e32 v63, v98, v73
	v_add_f32_e32 v37, v37, v70
	v_fmac_f32_e32 v62, 0x3f5db3d7, v61
	v_fmac_f32_e32 v56, 0xbf5db3d7, v61
	v_add_f32_e32 v61, v57, v98
	v_fma_f32 v57, -0.5, v63, v57
	v_mul_f32_e32 v75, v75, v31
	v_sub_f32_e32 v65, v97, v99
	v_mov_b32_e32 v63, v57
	v_add_f32_e32 v66, v74, v108
	ds_write2_b64 v170, v[36:37], v[38:39] offset1:11
	ds_write_b64 v170, v[32:33] offset:176
	v_mul_lo_u16_sdwa v32, v80, s12 dst_sel:DWORD dst_unused:UNUSED_PAD src0_sel:BYTE_0 src1_sel:DWORD
	v_fmac_f32_e32 v75, v76, v30
	v_fmac_f32_e32 v63, 0xbf5db3d7, v65
	;; [unrolled: 1-line block ×3, first 2 shown]
	v_add_f32_e32 v65, v58, v74
	v_fma_f32 v58, -0.5, v66, v58
	v_lshrrev_b16_e32 v79, 13, v32
	v_sub_f32_e32 v66, v107, v75
	v_mov_b32_e32 v69, v58
	v_add_f32_e32 v70, v107, v75
	v_mul_lo_u16_e32 v32, 33, v79
	v_fmac_f32_e32 v69, 0x3f5db3d7, v66
	v_fmac_f32_e32 v58, 0xbf5db3d7, v66
	v_add_f32_e32 v66, v59, v107
	v_fmac_f32_e32 v59, -0.5, v70
	v_sub_u16_e32 v32, v80, v32
	v_add_f32_e32 v60, v60, v99
	v_add_f32_e32 v61, v61, v73
	v_sub_f32_e32 v73, v74, v108
	v_mov_b32_e32 v70, v59
	v_and_b32_e32 v99, 0xff, v32
	v_add_f32_e32 v40, v40, v87
	v_add_f32_e32 v41, v41, v90
	;; [unrolled: 1-line block ×7, first 2 shown]
	v_fmac_f32_e32 v70, 0xbf5db3d7, v73
	v_lshlrev_b32_e32 v32, 4, v99
	s_mov_b32 s12, 0xf83f
	v_fmac_f32_e32 v59, 0x3f5db3d7, v73
	ds_write2_b64 v171, v[40:41], v[42:43] offset1:11
	ds_write_b64 v171, v[34:35] offset:176
	ds_write2_b64 v172, v[48:49], v[50:51] offset1:11
	ds_write_b64 v172, v[44:45] offset:176
	;; [unrolled: 2-line block ×5, first 2 shown]
	s_waitcnt lgkmcnt(0)
	s_barrier
	global_load_dwordx4 v[36:39], v5, s[4:5] offset:176
	s_nop 0
	global_load_dwordx4 v[32:35], v32, s[4:5] offset:176
	v_mul_u32_u24_sdwa v5, v4, s12 dst_sel:DWORD dst_unused:UNUSED_PAD src0_sel:WORD_0 src1_sel:DWORD
	v_lshrrev_b32_e32 v111, 21, v5
	v_mul_lo_u16_e32 v5, 33, v111
	v_mul_u32_u24_sdwa v44, v64, s12 dst_sel:DWORD dst_unused:UNUSED_PAD src0_sel:WORD_0 src1_sel:DWORD
	v_sub_u16_e32 v117, v4, v5
	v_lshrrev_b32_e32 v118, 21, v44
	v_lshlrev_b16_e32 v40, 4, v117
	v_mul_lo_u16_e32 v44, 33, v118
	v_mul_u32_u24_sdwa v48, v68, s12 dst_sel:DWORD dst_unused:UNUSED_PAD src0_sel:WORD_0 src1_sel:DWORD
	v_mov_b32_e32 v5, s5
	v_add_co_u32_e32 v40, vcc, s4, v40
	v_sub_u16_e32 v119, v64, v44
	v_lshrrev_b32_e32 v147, 21, v48
	v_addc_co_u32_e32 v41, vcc, 0, v5, vcc
	v_lshlrev_b16_e32 v44, 4, v119
	v_mul_lo_u16_e32 v48, 33, v147
	v_mul_u32_u24_sdwa v52, v72, s12 dst_sel:DWORD dst_unused:UNUSED_PAD src0_sel:WORD_0 src1_sel:DWORD
	global_load_dwordx4 v[40:43], v[40:41], off offset:176
	v_add_co_u32_e32 v44, vcc, s4, v44
	v_sub_u16_e32 v148, v68, v48
	v_lshrrev_b32_e32 v149, 21, v52
	v_addc_co_u32_e32 v45, vcc, 0, v5, vcc
	global_load_dwordx4 v[44:47], v[44:45], off offset:176
	v_lshlrev_b16_e32 v48, 4, v148
	v_mul_lo_u16_e32 v52, 33, v149
	v_add_co_u32_e32 v48, vcc, s4, v48
	v_sub_u16_e32 v150, v72, v52
	v_addc_co_u32_e32 v49, vcc, 0, v5, vcc
	v_lshlrev_b16_e32 v52, 4, v150
	global_load_dwordx4 v[48:51], v[48:49], off offset:176
	v_add_co_u32_e32 v52, vcc, s4, v52
	v_addc_co_u32_e32 v53, vcc, 0, v5, vcc
	global_load_dwordx4 v[52:55], v[52:53], off offset:176
	ds_read2_b64 v[56:59], v167 offset1:99
	ds_read2_b64 v[60:63], v103 offset0:82 offset1:181
	ds_read2_b64 v[73:76], v105 offset0:36 offset1:135
	;; [unrolled: 1-line block ×8, first 2 shown]
	s_waitcnt vmcnt(0) lgkmcnt(0)
	s_barrier
	s_mov_b32 s12, 0xa57f
	v_lshlrev_b32_e32 v80, 4, v80
	v_mul_f32_e32 v65, v61, v37
	v_fma_f32 v65, v60, v36, -v65
	v_mul_f32_e32 v66, v60, v37
	v_mul_f32_e32 v60, v74, v39
	v_fma_f32 v69, v73, v38, -v60
	v_mul_f32_e32 v60, v63, v33
	;; [unrolled: 3-line block ×3, first 2 shown]
	v_fma_f32 v77, v75, v34, -v60
	v_mul_f32_e32 v75, v75, v35
	v_fmac_f32_e32 v75, v76, v34
	v_fmac_f32_e32 v66, v61, v36
	v_add_f32_e32 v61, v65, v69
	v_fmac_f32_e32 v70, v74, v38
	v_mul_f32_e32 v74, v62, v33
	v_fmac_f32_e32 v74, v63, v32
	v_add_f32_e32 v63, v66, v70
	v_mul_f32_e32 v60, v86, v41
	v_fma_f32 v78, v85, v40, -v60
	v_mul_f32_e32 v60, v90, v43
	v_mul_f32_e32 v76, v85, v41
	v_fma_f32 v85, v89, v42, -v60
	v_fmac_f32_e32 v76, v86, v40
	v_mul_f32_e32 v86, v89, v43
	v_mul_f32_e32 v60, v88, v45
	v_fma_f32 v89, v87, v44, -v60
	v_mul_f32_e32 v87, v87, v45
	v_mul_f32_e32 v60, v92, v47
	v_fmac_f32_e32 v86, v90, v42
	v_fmac_f32_e32 v87, v88, v44
	v_fma_f32 v88, v91, v46, -v60
	v_mul_f32_e32 v90, v91, v47
	v_fmac_f32_e32 v90, v92, v46
	v_mul_f32_e32 v60, v108, v49
	v_fma_f32 v92, v107, v48, -v60
	v_mul_f32_e32 v60, v114, v51
	v_mul_f32_e32 v97, v107, v49
	v_fma_f32 v98, v113, v50, -v60
	v_mul_f32_e32 v60, v110, v53
	v_fmac_f32_e32 v97, v108, v48
	v_fma_f32 v108, v109, v52, -v60
	v_mul_f32_e32 v109, v109, v53
	v_mul_f32_e32 v60, v116, v55
	v_fmac_f32_e32 v109, v110, v52
	v_fma_f32 v110, v115, v54, -v60
	v_add_f32_e32 v60, v56, v65
	v_fma_f32 v56, -0.5, v61, v56
	v_sub_f32_e32 v61, v66, v70
	v_mov_b32_e32 v62, v56
	v_fmac_f32_e32 v62, 0x3f5db3d7, v61
	v_fmac_f32_e32 v56, 0xbf5db3d7, v61
	v_add_f32_e32 v61, v57, v66
	v_fma_f32 v57, -0.5, v63, v57
	v_sub_f32_e32 v65, v65, v69
	v_mov_b32_e32 v63, v57
	v_add_f32_e32 v66, v73, v77
	v_fmac_f32_e32 v63, 0xbf5db3d7, v65
	v_fmac_f32_e32 v57, 0x3f5db3d7, v65
	v_add_f32_e32 v65, v58, v73
	v_fma_f32 v58, -0.5, v66, v58
	v_add_f32_e32 v60, v60, v69
	v_sub_f32_e32 v66, v74, v75
	v_mov_b32_e32 v69, v58
	v_add_f32_e32 v61, v61, v70
	v_fmac_f32_e32 v69, 0x3f5db3d7, v66
	v_fmac_f32_e32 v58, 0xbf5db3d7, v66
	v_add_f32_e32 v66, v59, v74
	v_add_f32_e32 v70, v74, v75
	;; [unrolled: 1-line block ×4, first 2 shown]
	v_fma_f32 v75, -0.5, v74, v81
	v_add_f32_e32 v65, v65, v77
	v_sub_f32_e32 v73, v73, v77
	v_sub_f32_e32 v74, v76, v86
	v_mov_b32_e32 v77, v75
	v_fmac_f32_e32 v59, -0.5, v70
	v_fmac_f32_e32 v77, 0x3f5db3d7, v74
	v_fmac_f32_e32 v75, 0xbf5db3d7, v74
	v_add_f32_e32 v74, v82, v76
	v_add_f32_e32 v76, v76, v86
	v_mov_b32_e32 v70, v59
	v_fma_f32 v76, -0.5, v76, v82
	v_fmac_f32_e32 v70, 0xbf5db3d7, v73
	v_fmac_f32_e32 v59, 0x3f5db3d7, v73
	v_add_f32_e32 v73, v81, v78
	v_sub_f32_e32 v81, v78, v85
	v_mov_b32_e32 v78, v76
	v_add_f32_e32 v82, v89, v88
	v_fmac_f32_e32 v78, 0xbf5db3d7, v81
	v_fmac_f32_e32 v76, 0x3f5db3d7, v81
	v_add_f32_e32 v81, v83, v89
	v_fma_f32 v83, -0.5, v82, v83
	v_mul_f32_e32 v107, v113, v51
	v_add_f32_e32 v73, v73, v85
	v_sub_f32_e32 v82, v87, v90
	v_mov_b32_e32 v85, v83
	v_fmac_f32_e32 v107, v114, v50
	v_add_f32_e32 v74, v74, v86
	v_add_f32_e32 v81, v81, v88
	v_fmac_f32_e32 v85, 0x3f5db3d7, v82
	v_fmac_f32_e32 v83, 0xbf5db3d7, v82
	v_add_f32_e32 v82, v84, v87
	v_add_f32_e32 v86, v87, v90
	v_sub_f32_e32 v87, v89, v88
	v_add_f32_e32 v88, v92, v98
	v_add_f32_e32 v82, v82, v90
	v_fmac_f32_e32 v84, -0.5, v86
	v_fma_f32 v89, -0.5, v88, v93
	v_add_f32_e32 v90, v97, v107
	v_mov_b32_e32 v86, v84
	v_sub_f32_e32 v88, v97, v107
	v_mov_b32_e32 v91, v89
	v_fma_f32 v90, -0.5, v90, v94
	v_mul_f32_e32 v113, v115, v55
	v_fmac_f32_e32 v86, 0xbf5db3d7, v87
	v_fmac_f32_e32 v84, 0x3f5db3d7, v87
	v_add_f32_e32 v87, v93, v92
	v_fmac_f32_e32 v91, 0x3f5db3d7, v88
	v_fmac_f32_e32 v89, 0xbf5db3d7, v88
	v_add_f32_e32 v88, v94, v97
	v_sub_f32_e32 v93, v92, v98
	v_mov_b32_e32 v92, v90
	v_add_f32_e32 v94, v108, v110
	ds_write2_b64 v177, v[60:61], v[62:63] offset1:33
	ds_write_b64 v177, v[56:57] offset:528
	v_mul_u32_u24_e32 v56, 0x63, v79
	v_fmac_f32_e32 v113, v116, v54
	v_fmac_f32_e32 v92, 0xbf5db3d7, v93
	;; [unrolled: 1-line block ×3, first 2 shown]
	v_add_f32_e32 v93, v95, v108
	v_fma_f32 v95, -0.5, v94, v95
	v_add_lshl_u32 v178, v56, v99, 3
	v_mad_legacy_u16 v56, v111, s14, v117
	v_add_f32_e32 v87, v87, v98
	v_sub_f32_e32 v94, v109, v113
	v_mov_b32_e32 v97, v95
	v_add_f32_e32 v98, v109, v113
	v_lshlrev_b32_e32 v179, 3, v56
	v_mad_legacy_u16 v56, v118, s14, v119
	v_fmac_f32_e32 v97, 0x3f5db3d7, v94
	v_fmac_f32_e32 v95, 0xbf5db3d7, v94
	v_add_f32_e32 v94, v96, v109
	v_fmac_f32_e32 v96, -0.5, v98
	v_lshlrev_b32_e32 v180, 3, v56
	v_mad_legacy_u16 v56, v147, s14, v148
	v_mul_u32_u24_sdwa v60, v4, s12 dst_sel:DWORD dst_unused:UNUSED_PAD src0_sel:WORD_0 src1_sel:DWORD
	v_add_f32_e32 v88, v88, v107
	v_sub_f32_e32 v107, v108, v110
	v_mov_b32_e32 v98, v96
	v_lshlrev_b32_e32 v181, 3, v56
	v_mad_legacy_u16 v56, v149, s14, v150
	v_lshrrev_b32_e32 v60, 22, v60
	v_add_f32_e32 v93, v93, v110
	v_add_f32_e32 v94, v94, v113
	v_fmac_f32_e32 v98, 0xbf5db3d7, v107
	ds_write2_b64 v178, v[65:66], v[69:70] offset1:33
	ds_write_b64 v178, v[58:59] offset:528
	v_lshlrev_b32_e32 v182, 3, v56
	v_lshlrev_b32_e32 v99, 4, v168
	v_mul_lo_u16_e32 v60, 0x63, v60
	v_mul_u32_u24_sdwa v65, v64, s12 dst_sel:DWORD dst_unused:UNUSED_PAD src0_sel:WORD_0 src1_sel:DWORD
	v_fmac_f32_e32 v96, 0x3f5db3d7, v107
	ds_write2_b64 v179, v[73:74], v[77:78] offset1:33
	ds_write_b64 v179, v[75:76] offset:528
	ds_write2_b64 v180, v[81:82], v[85:86] offset1:33
	ds_write_b64 v180, v[83:84] offset:528
	ds_write2_b64 v181, v[87:88], v[91:92] offset1:33
	ds_write_b64 v181, v[89:90] offset:528
	ds_write2_b64 v182, v[93:94], v[97:98] offset1:33
	ds_write_b64 v182, v[95:96] offset:528
	s_waitcnt lgkmcnt(0)
	s_barrier
	global_load_dwordx4 v[56:59], v99, s[4:5] offset:704
	v_sub_u16_e32 v111, v4, v60
	v_lshrrev_b32_e32 v65, 22, v65
	v_lshlrev_b16_e32 v60, 4, v111
	v_mul_lo_u16_e32 v65, 0x63, v65
	v_mul_u32_u24_sdwa v69, v68, s12 dst_sel:DWORD dst_unused:UNUSED_PAD src0_sel:WORD_0 src1_sel:DWORD
	v_add_co_u32_e32 v60, vcc, s4, v60
	v_sub_u16_e32 v119, v64, v65
	v_lshrrev_b32_e32 v69, 22, v69
	v_addc_co_u32_e32 v61, vcc, 0, v5, vcc
	global_load_dwordx4 v[60:63], v[60:61], off offset:704
	v_lshlrev_b16_e32 v64, 4, v119
	v_mul_lo_u16_e32 v69, 0x63, v69
	v_mul_u32_u24_sdwa v73, v72, s12 dst_sel:DWORD dst_unused:UNUSED_PAD src0_sel:WORD_0 src1_sel:DWORD
	v_add_co_u32_e32 v64, vcc, s4, v64
	v_sub_u16_e32 v155, v68, v69
	v_lshrrev_b32_e32 v73, 22, v73
	v_addc_co_u32_e32 v65, vcc, 0, v5, vcc
	v_lshlrev_b16_e32 v68, 4, v155
	v_mul_lo_u16_e32 v73, 0x63, v73
	global_load_dwordx4 v[64:67], v[64:65], off offset:704
	v_add_co_u32_e32 v68, vcc, s4, v68
	v_sub_u16_e32 v156, v72, v73
	v_addc_co_u32_e32 v69, vcc, 0, v5, vcc
	global_load_dwordx4 v[68:71], v[68:69], off offset:704
	v_lshlrev_b16_e32 v72, 4, v156
	v_add_co_u32_e32 v72, vcc, s4, v72
	v_addc_co_u32_e32 v73, vcc, 0, v5, vcc
	global_load_dwordx4 v[72:75], v[72:73], off offset:704
	ds_read2_b64 v[76:79], v167 offset1:99
	ds_read2_b64 v[81:84], v103 offset0:82 offset1:181
	ds_read2_b64 v[85:88], v105 offset0:36 offset1:135
	;; [unrolled: 1-line block ×8, first 2 shown]
	v_lshlrev_b32_e32 v183, 3, v111
	s_waitcnt vmcnt(0) lgkmcnt(0)
	s_barrier
	v_lshlrev_b32_e32 v184, 3, v119
	v_lshlrev_b32_e32 v185, 3, v155
	v_lshlrev_b32_e32 v186, 3, v156
	v_lshlrev_b32_e32 v4, 4, v4
	s_movk_i32 s12, 0x2000
	v_mul_f32_e32 v97, v82, v57
	v_fma_f32 v97, v81, v56, -v97
	v_mul_f32_e32 v98, v81, v57
	v_mul_f32_e32 v81, v86, v59
	v_fma_f32 v117, v85, v58, -v81
	v_mul_f32_e32 v81, v84, v57
	v_fma_f32 v118, v83, v56, -v81
	;; [unrolled: 2-line block ×3, first 2 shown]
	v_fmac_f32_e32 v98, v82, v56
	v_mul_f32_e32 v85, v85, v59
	v_add_f32_e32 v82, v97, v117
	v_mul_f32_e32 v81, v94, v61
	v_fma_f32 v160, v93, v60, -v81
	v_mul_f32_e32 v81, v108, v63
	v_fma_f32 v162, v107, v62, -v81
	v_mul_f32_e32 v107, v107, v63
	v_fmac_f32_e32 v107, v108, v62
	v_fmac_f32_e32 v85, v86, v58
	v_mul_f32_e32 v157, v83, v57
	v_fmac_f32_e32 v157, v84, v56
	v_add_f32_e32 v84, v98, v85
	v_mul_f32_e32 v159, v87, v59
	v_add_f32_e32 v86, v118, v158
	v_mul_f32_e32 v81, v96, v65
	v_fma_f32 v108, v95, v64, -v81
	v_mul_f32_e32 v81, v110, v67
	v_fma_f32 v164, v109, v66, -v81
	v_fmac_f32_e32 v159, v88, v58
	v_add_f32_e32 v88, v157, v159
	v_mul_f32_e32 v81, v148, v69
	v_fma_f32 v165, v147, v68, -v81
	v_mul_f32_e32 v147, v147, v69
	v_mul_f32_e32 v81, v152, v71
	v_fmac_f32_e32 v147, v148, v68
	v_fma_f32 v148, v151, v70, -v81
	v_mul_f32_e32 v151, v151, v71
	v_mul_f32_e32 v81, v150, v73
	v_fmac_f32_e32 v151, v152, v70
	;; [unrolled: 4-line block ×3, first 2 shown]
	v_fma_f32 v150, v153, v74, -v81
	v_add_f32_e32 v81, v76, v97
	v_fma_f32 v76, -0.5, v82, v76
	v_sub_f32_e32 v82, v98, v85
	v_mov_b32_e32 v83, v76
	v_fmac_f32_e32 v83, 0x3f5db3d7, v82
	v_fmac_f32_e32 v76, 0xbf5db3d7, v82
	v_add_f32_e32 v82, v77, v98
	v_fma_f32 v77, -0.5, v84, v77
	v_add_f32_e32 v82, v82, v85
	v_sub_f32_e32 v85, v97, v117
	v_mov_b32_e32 v84, v77
	v_fmac_f32_e32 v84, 0xbf5db3d7, v85
	v_fmac_f32_e32 v77, 0x3f5db3d7, v85
	v_add_f32_e32 v85, v78, v118
	v_fma_f32 v78, -0.5, v86, v78
	v_sub_f32_e32 v86, v157, v159
	v_mov_b32_e32 v87, v78
	v_mul_f32_e32 v161, v93, v61
	v_fmac_f32_e32 v87, 0x3f5db3d7, v86
	v_fmac_f32_e32 v78, 0xbf5db3d7, v86
	v_add_f32_e32 v86, v79, v157
	v_fmac_f32_e32 v79, -0.5, v88
	v_fmac_f32_e32 v161, v94, v60
	v_sub_f32_e32 v93, v118, v158
	v_mov_b32_e32 v88, v79
	v_add_f32_e32 v94, v160, v162
	v_mul_f32_e32 v163, v95, v65
	v_fmac_f32_e32 v88, 0xbf5db3d7, v93
	v_fmac_f32_e32 v79, 0x3f5db3d7, v93
	v_add_f32_e32 v93, v89, v160
	v_fma_f32 v89, -0.5, v94, v89
	v_fmac_f32_e32 v163, v96, v64
	v_sub_f32_e32 v94, v161, v107
	v_mov_b32_e32 v95, v89
	v_add_f32_e32 v96, v161, v107
	v_fmac_f32_e32 v95, 0x3f5db3d7, v94
	v_fmac_f32_e32 v89, 0xbf5db3d7, v94
	v_add_f32_e32 v94, v90, v161
	v_fma_f32 v90, -0.5, v96, v90
	v_mul_f32_e32 v109, v109, v67
	v_sub_f32_e32 v97, v160, v162
	v_mov_b32_e32 v96, v90
	v_add_f32_e32 v98, v108, v164
	v_fmac_f32_e32 v109, v110, v66
	v_fmac_f32_e32 v96, 0xbf5db3d7, v97
	;; [unrolled: 1-line block ×3, first 2 shown]
	v_add_f32_e32 v97, v91, v108
	v_fma_f32 v91, -0.5, v98, v91
	v_add_f32_e32 v94, v94, v107
	v_sub_f32_e32 v98, v163, v109
	v_mov_b32_e32 v107, v91
	v_fmac_f32_e32 v107, 0x3f5db3d7, v98
	v_fmac_f32_e32 v91, 0xbf5db3d7, v98
	v_add_f32_e32 v98, v92, v163
	v_add_f32_e32 v98, v98, v109
	;; [unrolled: 1-line block ×3, first 2 shown]
	v_fmac_f32_e32 v92, -0.5, v109
	v_sub_f32_e32 v109, v108, v164
	v_mov_b32_e32 v108, v92
	v_add_f32_e32 v110, v165, v148
	v_fmac_f32_e32 v108, 0xbf5db3d7, v109
	v_fmac_f32_e32 v92, 0x3f5db3d7, v109
	v_add_f32_e32 v109, v113, v165
	v_fma_f32 v113, -0.5, v110, v113
	v_add_f32_e32 v81, v81, v117
	v_sub_f32_e32 v110, v147, v151
	v_mov_b32_e32 v117, v113
	v_add_f32_e32 v118, v147, v151
	v_fmac_f32_e32 v117, 0x3f5db3d7, v110
	v_fmac_f32_e32 v113, 0xbf5db3d7, v110
	v_add_f32_e32 v110, v114, v147
	v_fma_f32 v114, -0.5, v118, v114
	v_mul_f32_e32 v153, v153, v75
	v_add_f32_e32 v109, v109, v148
	v_sub_f32_e32 v147, v165, v148
	v_mov_b32_e32 v118, v114
	v_add_f32_e32 v148, v152, v150
	v_fmac_f32_e32 v153, v154, v74
	v_fmac_f32_e32 v118, 0xbf5db3d7, v147
	;; [unrolled: 1-line block ×3, first 2 shown]
	v_add_f32_e32 v147, v115, v152
	v_fma_f32 v115, -0.5, v148, v115
	v_add_f32_e32 v85, v85, v158
	v_add_f32_e32 v86, v86, v159
	;; [unrolled: 1-line block ×4, first 2 shown]
	v_sub_f32_e32 v148, v166, v153
	v_mov_b32_e32 v149, v115
	v_add_f32_e32 v151, v166, v153
	ds_write2_b64 v167, v[81:82], v[83:84] offset1:99
	ds_write2_b64 v106, v[76:77], v[85:86] offset0:70 offset1:169
	ds_write2_b64 v102, v[87:88], v[78:79] offset0:140 offset1:239
	v_add_u32_e32 v76, 0x1000, v183
	v_add_f32_e32 v97, v97, v164
	v_fmac_f32_e32 v149, 0x3f5db3d7, v148
	v_fmac_f32_e32 v115, 0xbf5db3d7, v148
	v_add_f32_e32 v148, v116, v166
	v_fmac_f32_e32 v116, -0.5, v151
	ds_write2_b64 v76, v[93:94], v[95:96] offset0:82 offset1:181
	ds_write_b64 v183, v[89:90] offset:6336
	v_add_u32_e32 v76, 0x1800, v184
	v_add_f32_e32 v147, v147, v150
	v_sub_f32_e32 v151, v152, v150
	v_mov_b32_e32 v150, v116
	ds_write2_b64 v76, v[97:98], v[107:108] offset0:123 offset1:222
	ds_write_b64 v184, v[91:92] offset:8712
	v_add_u32_e32 v76, 0x2400, v185
	v_add_f32_e32 v148, v148, v153
	v_fmac_f32_e32 v150, 0xbf5db3d7, v151
	ds_write2_b64 v76, v[109:110], v[117:118] offset0:36 offset1:135
	ds_write_b64 v185, v[113:114] offset:11088
	v_add_u32_e32 v76, 0x2c00, v186
	v_fmac_f32_e32 v116, 0x3f5db3d7, v151
	ds_write2_b64 v76, v[147:148], v[149:150] offset0:77 offset1:176
	ds_write_b64 v186, v[115:116] offset:13464
	s_waitcnt lgkmcnt(0)
	s_barrier
	global_load_dwordx4 v[76:79], v99, s[4:5] offset:2288
	global_load_dwordx4 v[84:87], v4, s[4:5] offset:2288
	s_nop 0
	global_load_dwordx4 v[80:83], v80, s[4:5] offset:2288
	ds_read2_b64 v[88:91], v167 offset1:99
	ds_read2_b64 v[92:95], v103 offset0:82 offset1:181
	ds_read2_b64 v[96:99], v105 offset0:36 offset1:135
	;; [unrolled: 1-line block ×8, first 2 shown]
	s_waitcnt vmcnt(0) lgkmcnt(0)
	s_barrier
	s_movk_i32 s5, 0x1000
	v_mul_f32_e32 v4, v93, v77
	v_fma_f32 v4, v92, v76, -v4
	v_mul_f32_e32 v111, v92, v77
	v_mul_f32_e32 v92, v97, v79
	v_fma_f32 v117, v96, v78, -v92
	v_mul_f32_e32 v92, v95, v81
	v_fma_f32 v118, v94, v80, -v92
	;; [unrolled: 2-line block ×5, first 2 shown]
	v_mul_f32_e32 v147, v147, v87
	v_mul_f32_e32 v92, v116, v77
	v_fmac_f32_e32 v147, v148, v86
	v_fma_f32 v148, v115, v76, -v92
	v_mul_f32_e32 v92, v150, v79
	v_fma_f32 v189, v149, v78, -v92
	v_mul_f32_e32 v92, v156, v81
	;; [unrolled: 2-line block ×3, first 2 shown]
	v_mul_f32_e32 v92, v160, v83
	v_fmac_f32_e32 v191, v156, v80
	v_fma_f32 v156, v159, v82, -v92
	v_mul_f32_e32 v159, v159, v83
	v_mul_f32_e32 v92, v158, v85
	v_fmac_f32_e32 v111, v93, v76
	v_mul_f32_e32 v96, v96, v79
	v_fmac_f32_e32 v159, v160, v82
	v_fma_f32 v160, v157, v84, -v92
	v_mul_f32_e32 v92, v162, v87
	v_add_f32_e32 v93, v4, v117
	v_fmac_f32_e32 v96, v97, v78
	v_mul_f32_e32 v119, v94, v81
	v_fma_f32 v193, v161, v86, -v92
	v_add_f32_e32 v92, v88, v4
	v_fma_f32 v88, -0.5, v93, v88
	v_fmac_f32_e32 v119, v95, v80
	v_sub_f32_e32 v93, v111, v96
	v_mov_b32_e32 v94, v88
	v_add_f32_e32 v95, v111, v96
	v_fmac_f32_e32 v94, 0x3f5db3d7, v93
	v_fmac_f32_e32 v88, 0xbf5db3d7, v93
	v_add_f32_e32 v93, v89, v111
	v_fma_f32 v89, -0.5, v95, v89
	v_sub_f32_e32 v4, v4, v117
	v_mov_b32_e32 v95, v89
	v_fmac_f32_e32 v95, 0xbf5db3d7, v4
	v_fmac_f32_e32 v89, 0x3f5db3d7, v4
	v_add_f32_e32 v4, v90, v118
	v_mul_f32_e32 v164, v98, v83
	v_add_f32_e32 v93, v93, v96
	v_add_f32_e32 v96, v4, v163
	;; [unrolled: 1-line block ×3, first 2 shown]
	v_fmac_f32_e32 v164, v99, v82
	v_fma_f32 v90, -0.5, v4, v90
	v_sub_f32_e32 v4, v119, v164
	v_mov_b32_e32 v98, v90
	v_fmac_f32_e32 v98, 0x3f5db3d7, v4
	v_fmac_f32_e32 v90, 0xbf5db3d7, v4
	v_add_f32_e32 v4, v91, v119
	v_add_f32_e32 v97, v4, v164
	;; [unrolled: 1-line block ×3, first 2 shown]
	v_fmac_f32_e32 v91, -0.5, v4
	v_sub_f32_e32 v4, v118, v163
	v_mov_b32_e32 v99, v91
	v_fmac_f32_e32 v99, 0xbf5db3d7, v4
	v_fmac_f32_e32 v91, 0x3f5db3d7, v4
	v_add_f32_e32 v4, v107, v165
	v_mul_f32_e32 v166, v113, v85
	v_add_f32_e32 v113, v4, v187
	v_add_f32_e32 v4, v165, v187
	v_fmac_f32_e32 v166, v114, v84
	v_fma_f32 v107, -0.5, v4, v107
	v_mul_f32_e32 v188, v115, v77
	v_sub_f32_e32 v4, v166, v147
	v_mov_b32_e32 v115, v107
	v_fmac_f32_e32 v115, 0x3f5db3d7, v4
	v_fmac_f32_e32 v107, 0xbf5db3d7, v4
	v_add_f32_e32 v4, v108, v166
	v_add_f32_e32 v114, v4, v147
	v_add_f32_e32 v4, v166, v147
	v_fma_f32 v108, -0.5, v4, v108
	v_fmac_f32_e32 v188, v116, v76
	v_sub_f32_e32 v4, v165, v187
	v_mov_b32_e32 v116, v108
	v_fmac_f32_e32 v116, 0xbf5db3d7, v4
	v_fmac_f32_e32 v108, 0x3f5db3d7, v4
	v_add_f32_e32 v4, v109, v148
	v_mul_f32_e32 v149, v149, v79
	v_add_f32_e32 v92, v92, v117
	v_add_f32_e32 v117, v4, v189
	;; [unrolled: 1-line block ×3, first 2 shown]
	v_fmac_f32_e32 v149, v150, v78
	v_fma_f32 v109, -0.5, v4, v109
	v_sub_f32_e32 v4, v188, v149
	v_mov_b32_e32 v147, v109
	v_fmac_f32_e32 v147, 0x3f5db3d7, v4
	v_fmac_f32_e32 v109, 0xbf5db3d7, v4
	v_add_f32_e32 v4, v110, v188
	v_add_f32_e32 v118, v4, v149
	;; [unrolled: 1-line block ×3, first 2 shown]
	v_fmac_f32_e32 v110, -0.5, v4
	v_sub_f32_e32 v4, v148, v189
	v_mov_b32_e32 v148, v110
	v_fmac_f32_e32 v148, 0xbf5db3d7, v4
	v_fmac_f32_e32 v110, 0x3f5db3d7, v4
	v_add_f32_e32 v4, v151, v190
	v_add_f32_e32 v149, v4, v156
	;; [unrolled: 1-line block ×3, first 2 shown]
	v_fma_f32 v151, -0.5, v4, v151
	v_sub_f32_e32 v4, v191, v159
	v_mov_b32_e32 v155, v151
	v_fmac_f32_e32 v155, 0x3f5db3d7, v4
	v_fmac_f32_e32 v151, 0xbf5db3d7, v4
	v_add_f32_e32 v4, v152, v191
	v_add_f32_e32 v150, v4, v159
	;; [unrolled: 1-line block ×3, first 2 shown]
	v_fma_f32 v152, -0.5, v4, v152
	v_sub_f32_e32 v4, v190, v156
	v_mov_b32_e32 v156, v152
	v_fmac_f32_e32 v156, 0xbf5db3d7, v4
	v_fmac_f32_e32 v152, 0x3f5db3d7, v4
	v_add_f32_e32 v4, v153, v160
	v_mul_f32_e32 v192, v157, v85
	v_mul_f32_e32 v161, v161, v87
	v_add_f32_e32 v157, v4, v193
	v_add_f32_e32 v4, v160, v193
	v_fmac_f32_e32 v192, v158, v84
	v_fmac_f32_e32 v161, v162, v86
	v_fma_f32 v153, -0.5, v4, v153
	v_sub_f32_e32 v4, v192, v161
	v_mov_b32_e32 v159, v153
	v_fmac_f32_e32 v159, 0x3f5db3d7, v4
	v_fmac_f32_e32 v153, 0xbf5db3d7, v4
	v_add_f32_e32 v4, v154, v192
	v_add_f32_e32 v158, v4, v161
	;; [unrolled: 1-line block ×3, first 2 shown]
	v_fmac_f32_e32 v154, -0.5, v4
	v_sub_f32_e32 v4, v160, v193
	v_mov_b32_e32 v160, v154
	v_fmac_f32_e32 v160, 0xbf5db3d7, v4
	v_fmac_f32_e32 v154, 0x3f5db3d7, v4
	ds_write2_b64 v167, v[92:93], v[96:97] offset1:99
	ds_write2_b64 v103, v[88:89], v[90:91] offset0:82 offset1:181
	ds_write2_b64 v106, v[113:114], v[94:95] offset0:70 offset1:169
	;; [unrolled: 1-line block ×8, first 2 shown]
	v_add_co_u32_e32 v88, vcc, s4, v167
	v_addc_co_u32_e32 v89, vcc, 0, v5, vcc
	v_add_co_u32_e32 v4, vcc, s5, v88
	v_addc_co_u32_e32 v5, vcc, 0, v89, vcc
	s_waitcnt lgkmcnt(0)
	s_barrier
	global_load_dwordx2 v[147:148], v[4:5], off offset:2944
	global_load_dwordx2 v[149:150], v[4:5], off offset:3736
	v_add_co_u32_e32 v4, vcc, s12, v88
	v_addc_co_u32_e32 v5, vcc, 0, v89, vcc
	global_load_dwordx2 v[151:152], v[4:5], off offset:432
	global_load_dwordx2 v[153:154], v[4:5], off offset:1224
	;; [unrolled: 1-line block ×4, first 2 shown]
	s_movk_i32 s4, 0x3000
	global_load_dwordx2 v[159:160], v[4:5], off offset:3600
	v_add_co_u32_e32 v4, vcc, s4, v88
	v_addc_co_u32_e32 v5, vcc, 0, v89, vcc
	global_load_dwordx2 v[161:162], v[4:5], off offset:296
	global_load_dwordx2 v[163:164], v[4:5], off offset:1088
	v_mov_b32_e32 v4, s15
	v_addc_co_u32_e64 v111, vcc, 0, v4, s[2:3]
	ds_read2_b64 v[88:91], v167 offset1:99
	ds_read2_b64 v[107:110], v100 offset0:24 offset1:123
	ds_read2_b64 v[92:95], v104 offset0:94 offset1:193
	;; [unrolled: 1-line block ×8, first 2 shown]
	s_movk_i32 s2, 0x37b0
	s_waitcnt vmcnt(8) lgkmcnt(7)
	v_mul_f32_e32 v4, v110, v148
	v_fma_f32 v4, v109, v147, -v4
	v_mul_f32_e32 v5, v109, v148
	s_waitcnt vmcnt(7) lgkmcnt(6)
	v_mul_f32_e32 v109, v93, v150
	v_fma_f32 v117, v92, v149, -v109
	s_waitcnt vmcnt(4) lgkmcnt(4)
	v_mul_f32_e32 v109, v116, v156
	v_mul_f32_e32 v92, v92, v150
	v_fma_f32 v203, v115, v155, -v109
	s_waitcnt vmcnt(3) lgkmcnt(2)
	v_mul_f32_e32 v109, v192, v158
	v_fmac_f32_e32 v92, v93, v149
	v_mul_f32_e32 v93, v95, v152
	v_fma_f32 v205, v191, v157, -v109
	s_waitcnt vmcnt(2)
	v_mul_f32_e32 v109, v194, v160
	v_fma_f32 v93, v94, v151, -v93
	v_mul_f32_e32 v94, v94, v152
	v_fma_f32 v207, v193, v159, -v109
	s_waitcnt vmcnt(1) lgkmcnt(0)
	v_mul_f32_e32 v109, v200, v162
	v_fmac_f32_e32 v5, v110, v147
	v_fmac_f32_e32 v94, v95, v151
	v_mul_f32_e32 v95, v114, v154
	v_mul_f32_e32 v119, v113, v154
	;; [unrolled: 1-line block ×5, first 2 shown]
	v_fma_f32 v209, v199, v161, -v109
	v_mul_f32_e32 v210, v199, v162
	s_waitcnt vmcnt(0)
	v_mul_f32_e32 v109, v202, v164
	v_mul_f32_e32 v212, v201, v164
	v_fma_f32 v95, v113, v153, -v95
	v_fmac_f32_e32 v119, v114, v153
	v_fmac_f32_e32 v204, v116, v155
	;; [unrolled: 1-line block ×5, first 2 shown]
	v_fma_f32 v211, v201, v163, -v109
	v_fmac_f32_e32 v212, v202, v163
	v_sub_f32_e32 v109, v88, v4
	v_sub_f32_e32 v110, v89, v5
	;; [unrolled: 1-line block ×6, first 2 shown]
	v_fma_f32 v113, v88, 2.0, -v109
	v_fma_f32 v114, v89, 2.0, -v110
	;; [unrolled: 1-line block ×6, first 2 shown]
	v_sub_f32_e32 v193, v98, v95
	v_sub_f32_e32 v194, v99, v119
	;; [unrolled: 1-line block ×12, first 2 shown]
	v_fma_f32 v199, v98, 2.0, -v193
	v_fma_f32 v200, v99, 2.0, -v194
	;; [unrolled: 1-line block ×12, first 2 shown]
	ds_write2_b64 v167, v[113:114], v[117:118] offset1:99
	ds_write2_b64 v104, v[115:116], v[165:166] offset0:94 offset1:193
	ds_write2_b64 v106, v[191:192], v[199:200] offset0:70 offset1:169
	;; [unrolled: 1-line block ×8, first 2 shown]
	v_add_co_u32_e32 v100, vcc, s4, v120
	v_addc_co_u32_e32 v101, vcc, 0, v111, vcc
	s_waitcnt lgkmcnt(0)
	s_barrier
	global_load_dwordx2 v[109:110], v[100:101], off offset:1968
	v_add_co_u32_e32 v100, vcc, s2, v120
	v_addc_co_u32_e32 v101, vcc, 0, v111, vcc
	global_load_dwordx2 v[113:114], v[100:101], off offset:1296
	global_load_dwordx2 v[115:116], v[100:101], off offset:2592
	;; [unrolled: 1-line block ×3, first 2 shown]
	s_movk_i32 s2, 0x4000
	v_add_co_u32_e32 v105, vcc, s2, v120
	v_addc_co_u32_e32 v106, vcc, 0, v111, vcc
	global_load_dwordx2 v[165:166], v[105:106], off offset:3056
	s_movk_i32 s2, 0x5000
	v_add_co_u32_e32 v105, vcc, s2, v120
	v_addc_co_u32_e32 v106, vcc, 0, v111, vcc
	global_load_dwordx2 v[187:188], v[105:106], off offset:256
	global_load_dwordx2 v[189:190], v[105:106], off offset:1552
	;; [unrolled: 1-line block ×3, first 2 shown]
	s_movk_i32 s2, 0x6000
	v_add_co_u32_e32 v105, vcc, s2, v120
	v_addc_co_u32_e32 v106, vcc, 0, v111, vcc
	global_load_dwordx2 v[193:194], v[105:106], off offset:48
	global_load_dwordx2 v[195:196], v[105:106], off offset:1344
	;; [unrolled: 1-line block ×3, first 2 shown]
	ds_read2_b64 v[105:108], v167 offset1:162
	s_waitcnt vmcnt(10) lgkmcnt(0)
	v_mul_f32_e32 v103, v106, v110
	v_mul_f32_e32 v200, v105, v110
	v_fma_f32 v199, v105, v109, -v103
	v_fmac_f32_e32 v200, v106, v109
	s_waitcnt vmcnt(9)
	v_mul_f32_e32 v103, v108, v114
	v_mul_f32_e32 v106, v107, v114
	v_fma_f32 v105, v107, v113, -v103
	v_fmac_f32_e32 v106, v108, v113
	ds_write2_b64 v167, v[199:200], v[105:106] offset1:162
	ds_read2_b64 v[105:108], v102 offset0:68 offset1:230
	s_waitcnt vmcnt(8) lgkmcnt(0)
	v_mul_f32_e32 v103, v106, v116
	v_fma_f32 v109, v105, v115, -v103
	v_mul_f32_e32 v110, v105, v116
	v_add_u32_e32 v103, 0x1400, v167
	v_fmac_f32_e32 v110, v106, v115
	ds_read2_b64 v[113:116], v103 offset0:8 offset1:170
	s_waitcnt vmcnt(7)
	v_mul_f32_e32 v105, v108, v118
	v_mul_f32_e32 v106, v107, v118
	v_fma_f32 v105, v107, v117, -v105
	v_fmac_f32_e32 v106, v108, v117
	ds_write2_b64 v102, v[109:110], v[105:106] offset0:68 offset1:230
	s_waitcnt vmcnt(6) lgkmcnt(1)
	v_mul_f32_e32 v105, v114, v166
	v_fma_f32 v109, v113, v165, -v105
	ds_read2_b64 v[105:108], v104 offset0:76 offset1:238
	v_mul_f32_e32 v110, v113, v166
	v_fmac_f32_e32 v110, v114, v165
	s_waitcnt vmcnt(5)
	v_mul_f32_e32 v111, v116, v188
	v_mul_f32_e32 v114, v115, v188
	v_fma_f32 v113, v115, v187, -v111
	v_fmac_f32_e32 v114, v116, v187
	ds_write2_b64 v103, v[109:110], v[113:114] offset0:8 offset1:170
	s_waitcnt vmcnt(4) lgkmcnt(1)
	v_mul_f32_e32 v109, v106, v190
	v_mul_f32_e32 v110, v105, v190
	ds_read2_b64 v[113:116], v112 offset0:16 offset1:178
	v_fma_f32 v109, v105, v189, -v109
	v_fmac_f32_e32 v110, v106, v189
	s_waitcnt vmcnt(3)
	v_mul_f32_e32 v105, v108, v192
	v_mul_f32_e32 v106, v107, v192
	v_fma_f32 v105, v107, v191, -v105
	v_fmac_f32_e32 v106, v108, v191
	ds_read_b64 v[107:108], v167 offset:12960
	ds_write2_b64 v104, v[109:110], v[105:106] offset0:76 offset1:238
	s_waitcnt vmcnt(2) lgkmcnt(2)
	v_mul_f32_e32 v105, v114, v194
	v_mul_f32_e32 v106, v113, v194
	s_waitcnt vmcnt(1)
	v_mul_f32_e32 v109, v116, v196
	v_mul_f32_e32 v110, v115, v196
	v_fma_f32 v105, v113, v193, -v105
	v_fmac_f32_e32 v106, v114, v193
	v_fma_f32 v109, v115, v195, -v109
	v_fmac_f32_e32 v110, v116, v195
	ds_write2_b64 v112, v[105:106], v[109:110] offset0:16 offset1:178
	s_waitcnt vmcnt(0) lgkmcnt(2)
	v_mul_f32_e32 v105, v108, v198
	v_mul_f32_e32 v106, v107, v198
	v_fma_f32 v105, v107, v197, -v105
	v_fmac_f32_e32 v106, v108, v197
	ds_write_b64 v167, v[105:106] offset:12960
	s_and_saveexec_b64 s[2:3], s[0:1]
	s_cbranch_execz .LBB0_9
; %bb.8:
	global_load_dwordx2 v[109:110], v[100:101], off offset:792
	global_load_dwordx2 v[113:114], v[100:101], off offset:2088
	v_add_co_u32_e32 v105, vcc, s5, v100
	v_addc_co_u32_e32 v106, vcc, 0, v101, vcc
	v_add_co_u32_e32 v107, vcc, s12, v100
	v_addc_co_u32_e32 v108, vcc, 0, v101, vcc
	global_load_dwordx2 v[117:118], v[100:101], off offset:3384
	global_load_dwordx2 v[165:166], v[105:106], off offset:584
	;; [unrolled: 1-line block ×3, first 2 shown]
	v_add_co_u32_e32 v100, vcc, s4, v100
	v_addc_co_u32_e32 v101, vcc, 0, v101, vcc
	global_load_dwordx2 v[197:198], v[105:106], off offset:3176
	global_load_dwordx2 v[199:200], v[107:108], off offset:376
	;; [unrolled: 1-line block ×5, first 2 shown]
	s_nop 0
	global_load_dwordx2 v[100:101], v[100:101], off offset:1464
	v_add_u32_e32 v116, 0x200, v167
	ds_read2_b64 v[105:108], v116 offset0:35 offset1:197
	v_add_u32_e32 v210, 0xc00, v167
	v_add_u32_e32 v211, 0x1600, v167
	;; [unrolled: 1-line block ×4, first 2 shown]
	s_waitcnt vmcnt(10) lgkmcnt(0)
	v_mul_f32_e32 v119, v106, v110
	v_mul_f32_e32 v111, v105, v110
	s_waitcnt vmcnt(9)
	v_mul_f32_e32 v187, v108, v114
	v_mul_f32_e32 v115, v107, v114
	v_fma_f32 v110, v105, v109, -v119
	v_fmac_f32_e32 v111, v106, v109
	v_fma_f32 v114, v107, v113, -v187
	v_fmac_f32_e32 v115, v108, v113
	ds_write2_b64 v116, v[110:111], v[114:115] offset0:35 offset1:197
	ds_read2_b64 v[105:108], v210 offset0:39 offset1:201
	ds_read2_b64 v[113:116], v211 offset0:43 offset1:205
	ds_read2_b64 v[187:190], v212 offset0:47 offset1:209
	ds_read2_b64 v[191:194], v213 offset0:51 offset1:213
	ds_read_b64 v[109:110], v167 offset:13752
	s_waitcnt vmcnt(8) lgkmcnt(4)
	v_mul_f32_e32 v111, v106, v118
	v_mul_f32_e32 v119, v105, v118
	s_waitcnt vmcnt(7)
	v_mul_f32_e32 v208, v108, v166
	v_mul_f32_e32 v207, v107, v166
	s_waitcnt vmcnt(6) lgkmcnt(3)
	v_mul_f32_e32 v214, v114, v196
	v_mul_f32_e32 v166, v113, v196
	s_waitcnt vmcnt(5)
	v_mul_f32_e32 v215, v116, v198
	v_mul_f32_e32 v196, v115, v198
	;; [unrolled: 6-line block ×4, first 2 shown]
	s_waitcnt vmcnt(0) lgkmcnt(0)
	v_mul_f32_e32 v220, v110, v101
	v_mul_f32_e32 v209, v109, v101
	v_fma_f32 v118, v105, v117, -v111
	v_fmac_f32_e32 v119, v106, v117
	v_fma_f32 v206, v107, v165, -v208
	v_fmac_f32_e32 v207, v108, v165
	;; [unrolled: 2-line block ×9, first 2 shown]
	ds_write2_b64 v210, v[118:119], v[206:207] offset0:39 offset1:201
	ds_write2_b64 v211, v[165:166], v[195:196] offset0:43 offset1:205
	;; [unrolled: 1-line block ×4, first 2 shown]
	ds_write_b64 v167, v[208:209] offset:13752
.LBB0_9:
	s_or_b64 exec, exec, s[2:3]
	s_waitcnt lgkmcnt(0)
	s_barrier
	ds_read2_b64 v[116:119], v167 offset1:162
	ds_read2_b64 v[108:111], v102 offset0:68 offset1:230
	ds_read2_b64 v[100:103], v103 offset0:8 offset1:170
	;; [unrolled: 1-line block ×4, first 2 shown]
	ds_read_b64 v[165:166], v167 offset:12960
	s_and_saveexec_b64 s[2:3], s[0:1]
	s_cbranch_execz .LBB0_11
; %bb.10:
	v_add_u32_e32 v0, 0x200, v167
	ds_read2_b64 v[88:91], v0 offset0:35 offset1:197
	v_add_u32_e32 v0, 0xc00, v167
	ds_read2_b64 v[92:95], v0 offset0:39 offset1:201
	;; [unrolled: 2-line block ×5, first 2 shown]
	ds_read_b64 v[145:146], v167 offset:13752
.LBB0_11:
	s_or_b64 exec, exec, s[2:3]
	s_waitcnt lgkmcnt(5)
	v_add_f32_e32 v187, v116, v118
	v_add_f32_e32 v188, v117, v119
	s_waitcnt lgkmcnt(4)
	v_add_f32_e32 v187, v187, v108
	v_add_f32_e32 v188, v188, v109
	v_add_f32_e32 v187, v187, v110
	v_add_f32_e32 v188, v188, v111
	s_waitcnt lgkmcnt(3)
	v_add_f32_e32 v187, v187, v100
	v_add_f32_e32 v188, v188, v101
	;; [unrolled: 5-line block ×4, first 2 shown]
	v_add_f32_e32 v187, v187, v114
	s_waitcnt lgkmcnt(0)
	v_add_f32_e32 v190, v166, v119
	v_sub_f32_e32 v119, v119, v166
	v_add_f32_e32 v188, v188, v115
	v_add_f32_e32 v187, v187, v165
	v_add_f32_e32 v189, v165, v118
	v_sub_f32_e32 v118, v118, v165
	v_mul_f32_e32 v165, 0xbf0a6770, v119
	v_mul_f32_e32 v193, 0xbf68dda4, v119
	;; [unrolled: 1-line block ×5, first 2 shown]
	v_add_f32_e32 v188, v188, v166
	s_mov_b32 s4, 0x3f575c64
	v_mov_b32_e32 v166, v165
	s_mov_b32 s5, 0x3ed4b147
	v_mov_b32_e32 v194, v193
	;; [unrolled: 2-line block ×5, first 2 shown]
	v_fmac_f32_e32 v166, 0x3f575c64, v189
	v_mul_f32_e32 v191, 0x3f575c64, v190
	v_fma_f32 v165, v189, s4, -v165
	v_fmac_f32_e32 v194, 0x3ed4b147, v189
	v_mul_f32_e32 v195, 0x3ed4b147, v190
	v_fma_f32 v193, v189, s5, -v193
	;; [unrolled: 3-line block ×5, first 2 shown]
	v_add_f32_e32 v166, v116, v166
	v_mov_b32_e32 v192, v191
	v_add_f32_e32 v165, v116, v165
	v_add_f32_e32 v194, v116, v194
	v_mov_b32_e32 v196, v195
	v_add_f32_e32 v193, v116, v193
	;; [unrolled: 3-line block ×5, first 2 shown]
	v_add_f32_e32 v119, v115, v109
	v_sub_f32_e32 v109, v109, v115
	v_fmac_f32_e32 v192, 0x3f0a6770, v118
	v_fmac_f32_e32 v191, 0xbf0a6770, v118
	;; [unrolled: 1-line block ×10, first 2 shown]
	v_add_f32_e32 v118, v114, v108
	v_sub_f32_e32 v108, v108, v114
	v_mul_f32_e32 v114, 0xbf68dda4, v109
	v_mov_b32_e32 v115, v114
	v_fmac_f32_e32 v115, 0x3ed4b147, v118
	v_add_f32_e32 v115, v115, v166
	v_mul_f32_e32 v166, 0x3ed4b147, v119
	v_add_f32_e32 v191, v117, v191
	v_mov_b32_e32 v189, v166
	v_fma_f32 v114, v118, s5, -v114
	v_fmac_f32_e32 v166, 0xbf68dda4, v108
	v_add_f32_e32 v114, v114, v165
	v_add_f32_e32 v165, v166, v191
	v_mul_f32_e32 v166, 0xbf4178ce, v109
	v_add_f32_e32 v192, v117, v192
	v_add_f32_e32 v196, v117, v196
	;; [unrolled: 1-line block ×9, first 2 shown]
	v_mov_b32_e32 v190, v166
	v_fma_f32 v166, v118, s13, -v166
	v_fmac_f32_e32 v189, 0x3f68dda4, v108
	v_fmac_f32_e32 v190, 0xbf27a4f4, v118
	v_mul_f32_e32 v191, 0xbf27a4f4, v119
	v_add_f32_e32 v166, v166, v193
	v_mul_f32_e32 v193, 0x3e903f40, v109
	v_add_f32_e32 v189, v189, v192
	v_add_f32_e32 v190, v190, v194
	v_mov_b32_e32 v192, v191
	v_fmac_f32_e32 v191, 0xbf4178ce, v108
	v_mov_b32_e32 v194, v193
	v_fma_f32 v193, v118, s14, -v193
	v_fmac_f32_e32 v192, 0x3f4178ce, v108
	v_add_f32_e32 v191, v191, v195
	v_fmac_f32_e32 v194, 0xbf75a155, v118
	v_mul_f32_e32 v195, 0xbf75a155, v119
	v_add_f32_e32 v193, v193, v197
	v_mul_f32_e32 v197, 0x3f7d64f0, v109
	v_add_f32_e32 v192, v192, v196
	v_add_f32_e32 v194, v194, v198
	v_mov_b32_e32 v196, v195
	v_fmac_f32_e32 v195, 0x3e903f40, v108
	v_mov_b32_e32 v198, v197
	v_fmac_f32_e32 v196, 0xbe903f40, v108
	v_add_f32_e32 v195, v195, v199
	v_fmac_f32_e32 v198, 0xbe11bafb, v118
	v_mul_f32_e32 v199, 0xbe11bafb, v119
	v_mul_f32_e32 v119, 0x3f575c64, v119
	v_add_f32_e32 v196, v196, v200
	v_add_f32_e32 v198, v198, v202
	v_mov_b32_e32 v200, v199
	v_fma_f32 v197, v118, s12, -v197
	v_mul_f32_e32 v109, 0x3f0a6770, v109
	v_mov_b32_e32 v202, v119
	v_fmac_f32_e32 v119, 0x3f0a6770, v108
	v_fmac_f32_e32 v200, 0xbf7d64f0, v108
	v_add_f32_e32 v197, v197, v201
	v_fmac_f32_e32 v199, 0x3f7d64f0, v108
	v_mov_b32_e32 v201, v109
	v_fmac_f32_e32 v202, 0xbf0a6770, v108
	v_fma_f32 v109, v118, s4, -v109
	v_add_f32_e32 v108, v119, v117
	v_add_f32_e32 v117, v113, v111
	v_sub_f32_e32 v111, v111, v113
	v_add_f32_e32 v109, v109, v116
	v_add_f32_e32 v116, v112, v110
	v_sub_f32_e32 v110, v110, v112
	v_mul_f32_e32 v112, 0xbf7d64f0, v111
	v_mov_b32_e32 v113, v112
	v_fmac_f32_e32 v113, 0xbe11bafb, v116
	v_add_f32_e32 v113, v113, v115
	v_mul_f32_e32 v115, 0xbe11bafb, v117
	v_fmac_f32_e32 v201, 0x3f575c64, v118
	v_mov_b32_e32 v118, v115
	v_fma_f32 v112, v116, s12, -v112
	v_fmac_f32_e32 v115, 0xbf7d64f0, v110
	v_add_f32_e32 v112, v112, v114
	v_add_f32_e32 v114, v115, v165
	v_mul_f32_e32 v115, 0x3e903f40, v111
	v_mov_b32_e32 v119, v115
	v_fma_f32 v115, v116, s14, -v115
	v_fmac_f32_e32 v118, 0x3f7d64f0, v110
	v_fmac_f32_e32 v119, 0xbf75a155, v116
	v_mul_f32_e32 v165, 0xbf75a155, v117
	v_add_f32_e32 v115, v115, v166
	v_mul_f32_e32 v166, 0x3f68dda4, v111
	v_add_f32_e32 v118, v118, v189
	v_add_f32_e32 v119, v119, v190
	v_mov_b32_e32 v189, v165
	v_fmac_f32_e32 v165, 0x3e903f40, v110
	v_mov_b32_e32 v190, v166
	v_fma_f32 v166, v116, s5, -v166
	v_fmac_f32_e32 v189, 0xbe903f40, v110
	v_add_f32_e32 v165, v165, v191
	v_fmac_f32_e32 v190, 0x3ed4b147, v116
	v_mul_f32_e32 v191, 0x3ed4b147, v117
	v_add_f32_e32 v166, v166, v193
	v_mul_f32_e32 v193, 0xbf0a6770, v111
	v_add_f32_e32 v189, v189, v192
	v_add_f32_e32 v190, v190, v194
	v_mov_b32_e32 v192, v191
	v_fmac_f32_e32 v191, 0x3f68dda4, v110
	v_mov_b32_e32 v194, v193
	v_fma_f32 v193, v116, s4, -v193
	v_mul_f32_e32 v111, 0xbf4178ce, v111
	v_fmac_f32_e32 v192, 0xbf68dda4, v110
	v_add_f32_e32 v191, v191, v195
	v_fmac_f32_e32 v194, 0x3f575c64, v116
	v_mul_f32_e32 v195, 0x3f575c64, v117
	v_add_f32_e32 v193, v193, v197
	v_mov_b32_e32 v197, v111
	v_mul_f32_e32 v117, 0xbf27a4f4, v117
	v_fma_f32 v111, v116, s13, -v111
	v_add_f32_e32 v192, v192, v196
	v_add_f32_e32 v194, v194, v198
	v_mov_b32_e32 v196, v195
	v_mov_b32_e32 v198, v117
	v_add_f32_e32 v109, v111, v109
	v_add_f32_e32 v111, v107, v101
	v_sub_f32_e32 v101, v101, v107
	v_fmac_f32_e32 v196, 0x3f0a6770, v110
	v_fmac_f32_e32 v195, 0xbf0a6770, v110
	;; [unrolled: 1-line block ×4, first 2 shown]
	v_add_f32_e32 v110, v106, v100
	v_sub_f32_e32 v100, v100, v106
	v_mul_f32_e32 v106, 0xbf4178ce, v101
	v_mov_b32_e32 v107, v106
	v_fmac_f32_e32 v107, 0xbf27a4f4, v110
	v_add_f32_e32 v107, v107, v113
	v_mul_f32_e32 v113, 0xbf27a4f4, v111
	v_fmac_f32_e32 v197, 0xbf27a4f4, v116
	v_mov_b32_e32 v116, v113
	v_fma_f32 v106, v110, s13, -v106
	v_fmac_f32_e32 v113, 0xbf4178ce, v100
	v_add_f32_e32 v108, v117, v108
	v_fmac_f32_e32 v116, 0x3f4178ce, v100
	v_add_f32_e32 v106, v106, v112
	v_add_f32_e32 v112, v113, v114
	v_mul_f32_e32 v113, 0x3f7d64f0, v101
	v_mul_f32_e32 v117, 0xbe11bafb, v111
	v_add_f32_e32 v116, v116, v118
	v_mov_b32_e32 v114, v113
	v_mov_b32_e32 v118, v117
	v_fma_f32 v113, v110, s12, -v113
	v_fmac_f32_e32 v117, 0x3f7d64f0, v100
	v_fmac_f32_e32 v114, 0xbe11bafb, v110
	v_add_f32_e32 v113, v113, v115
	v_add_f32_e32 v115, v117, v165
	v_mul_f32_e32 v117, 0xbf0a6770, v101
	v_add_f32_e32 v114, v114, v119
	v_mov_b32_e32 v119, v117
	v_fma_f32 v117, v110, s4, -v117
	v_fmac_f32_e32 v119, 0x3f575c64, v110
	v_add_f32_e32 v117, v117, v166
	v_mul_f32_e32 v166, 0xbe903f40, v101
	v_fmac_f32_e32 v118, 0xbf7d64f0, v100
	v_add_f32_e32 v119, v119, v190
	v_mul_f32_e32 v165, 0x3f575c64, v111
	v_mov_b32_e32 v190, v166
	v_fma_f32 v166, v110, s14, -v166
	v_mul_f32_e32 v101, 0x3f68dda4, v101
	v_add_f32_e32 v200, v200, v204
	v_add_f32_e32 v201, v201, v205
	;; [unrolled: 1-line block ×3, first 2 shown]
	v_mov_b32_e32 v189, v165
	v_fmac_f32_e32 v165, 0xbf0a6770, v100
	v_add_f32_e32 v166, v166, v193
	v_mov_b32_e32 v193, v101
	v_add_f32_e32 v199, v199, v203
	v_add_f32_e32 v196, v196, v200
	;; [unrolled: 1-line block ×3, first 2 shown]
	v_fmac_f32_e32 v189, 0x3f0a6770, v100
	v_add_f32_e32 v165, v165, v191
	v_fmac_f32_e32 v190, 0xbf75a155, v110
	v_mul_f32_e32 v191, 0xbf75a155, v111
	v_fmac_f32_e32 v193, 0x3ed4b147, v110
	v_mul_f32_e32 v111, 0x3ed4b147, v111
	v_sub_f32_e32 v200, v103, v105
	v_add_f32_e32 v202, v202, v206
	v_add_f32_e32 v195, v195, v199
	;; [unrolled: 1-line block ×4, first 2 shown]
	v_mov_b32_e32 v192, v191
	v_add_f32_e32 v193, v193, v197
	v_mov_b32_e32 v194, v111
	v_add_f32_e32 v197, v104, v102
	v_sub_f32_e32 v199, v102, v104
	v_mul_f32_e32 v102, 0xbe903f40, v200
	v_add_f32_e32 v198, v198, v202
	v_fmac_f32_e32 v192, 0x3e903f40, v100
	v_fmac_f32_e32 v191, 0xbe903f40, v100
	;; [unrolled: 1-line block ×4, first 2 shown]
	v_mov_b32_e32 v100, v102
	v_add_f32_e32 v194, v194, v198
	v_add_f32_e32 v198, v105, v103
	v_fmac_f32_e32 v100, 0xbf75a155, v197
	v_fma_f32 v102, v197, s14, -v102
	v_fma_f32 v101, v110, s5, -v101
	v_add_f32_e32 v100, v100, v107
	v_add_f32_e32 v102, v102, v106
	v_mul_f32_e32 v106, 0x3f0a6770, v200
	v_mul_f32_e32 v107, 0x3f575c64, v198
	;; [unrolled: 1-line block ×3, first 2 shown]
	v_add_f32_e32 v192, v192, v196
	v_add_f32_e32 v196, v111, v108
	v_mul_f32_e32 v103, 0xbf75a155, v198
	v_mov_b32_e32 v104, v106
	v_mov_b32_e32 v105, v107
	;; [unrolled: 1-line block ×3, first 2 shown]
	v_add_f32_e32 v191, v191, v195
	v_add_f32_e32 v195, v101, v109
	v_mov_b32_e32 v101, v103
	v_fmac_f32_e32 v104, 0x3f575c64, v197
	v_fmac_f32_e32 v105, 0xbf0a6770, v199
	;; [unrolled: 1-line block ×6, first 2 shown]
	v_add_f32_e32 v104, v104, v114
	v_add_f32_e32 v105, v105, v118
	v_fma_f32 v106, v197, s4, -v106
	v_add_f32_e32 v107, v107, v115
	v_add_f32_e32 v108, v108, v119
	v_mul_f32_e32 v111, 0xbf27a4f4, v198
	v_fma_f32 v110, v197, s13, -v110
	v_mul_f32_e32 v114, 0x3f68dda4, v200
	v_mul_f32_e32 v115, 0x3ed4b147, v198
	v_mul_f32_e32 v118, 0xbf7d64f0, v200
	v_mul_f32_e32 v119, 0xbe11bafb, v198
	v_add_f32_e32 v101, v101, v116
	v_add_f32_e32 v103, v103, v112
	;; [unrolled: 1-line block ×3, first 2 shown]
	v_mov_b32_e32 v109, v111
	v_add_f32_e32 v110, v110, v117
	v_mov_b32_e32 v112, v114
	v_mov_b32_e32 v113, v115
	;; [unrolled: 1-line block ×4, first 2 shown]
	v_fmac_f32_e32 v109, 0x3f4178ce, v199
	v_fmac_f32_e32 v111, 0xbf4178ce, v199
	;; [unrolled: 1-line block ×4, first 2 shown]
	v_fma_f32 v114, v197, s5, -v114
	v_fmac_f32_e32 v115, 0x3f68dda4, v199
	v_fmac_f32_e32 v116, 0xbe11bafb, v197
	;; [unrolled: 1-line block ×3, first 2 shown]
	v_fma_f32 v118, v197, s12, -v118
	v_fmac_f32_e32 v119, 0xbf7d64f0, v199
	v_add_f32_e32 v109, v109, v189
	v_add_f32_e32 v111, v111, v165
	;; [unrolled: 1-line block ×10, first 2 shown]
	s_barrier
	ds_write2_b64 v176, v[187:188], v[100:101] offset1:1
	ds_write2_b64 v176, v[104:105], v[108:109] offset0:2 offset1:3
	ds_write2_b64 v176, v[112:113], v[116:117] offset0:4 offset1:5
	ds_write2_b64 v176, v[118:119], v[114:115] offset0:6 offset1:7
	ds_write2_b64 v176, v[110:111], v[106:107] offset0:8 offset1:9
	ds_write_b64 v176, v[102:103] offset:80
	s_and_saveexec_b64 s[2:3], s[0:1]
	s_cbranch_execz .LBB0_13
; %bb.12:
	v_add_f32_e32 v108, v146, v91
	v_mul_f32_e32 v110, 0xbf75a155, v108
	v_add_f32_e32 v109, v3, v93
	v_sub_f32_e32 v111, v90, v145
	v_mov_b32_e32 v100, v110
	v_mul_f32_e32 v112, 0x3f575c64, v109
	v_fmac_f32_e32 v100, 0x3e903f40, v111
	v_sub_f32_e32 v113, v92, v2
	v_mov_b32_e32 v101, v112
	v_add_f32_e32 v114, v1, v95
	v_add_f32_e32 v100, v89, v100
	v_fmac_f32_e32 v101, 0xbf0a6770, v113
	v_mul_f32_e32 v115, 0xbf27a4f4, v114
	v_add_f32_e32 v100, v101, v100
	v_sub_f32_e32 v116, v94, v0
	v_mov_b32_e32 v101, v115
	v_add_f32_e32 v117, v7, v97
	v_fmac_f32_e32 v101, 0x3f4178ce, v116
	v_mul_f32_e32 v118, 0x3ed4b147, v117
	v_add_f32_e32 v100, v101, v100
	v_sub_f32_e32 v119, v96, v6
	v_mov_b32_e32 v101, v118
	;; [unrolled: 6-line block ×3, first 2 shown]
	v_sub_f32_e32 v188, v91, v146
	v_fmac_f32_e32 v101, 0x3f7d64f0, v176
	v_mul_f32_e32 v189, 0xbe903f40, v188
	v_sub_f32_e32 v191, v93, v3
	v_add_f32_e32 v101, v101, v100
	v_add_f32_e32 v187, v145, v90
	v_mov_b32_e32 v100, v189
	v_mul_f32_e32 v192, 0x3f0a6770, v191
	v_fmac_f32_e32 v100, 0xbf75a155, v187
	v_add_f32_e32 v190, v2, v92
	v_mov_b32_e32 v102, v192
	v_sub_f32_e32 v194, v95, v1
	v_add_f32_e32 v100, v88, v100
	v_fmac_f32_e32 v102, 0x3f575c64, v190
	v_mul_f32_e32 v195, 0xbf4178ce, v194
	v_add_f32_e32 v100, v102, v100
	v_add_f32_e32 v193, v0, v94
	v_mov_b32_e32 v102, v195
	v_sub_f32_e32 v197, v97, v7
	v_fmac_f32_e32 v102, 0xbf27a4f4, v193
	v_mul_f32_e32 v198, 0x3f68dda4, v197
	v_add_f32_e32 v100, v102, v100
	v_add_f32_e32 v196, v6, v96
	v_mov_b32_e32 v102, v198
	v_sub_f32_e32 v200, v99, v5
	v_fmac_f32_e32 v102, 0x3ed4b147, v196
	v_mul_f32_e32 v201, 0xbf7d64f0, v200
	v_add_f32_e32 v100, v102, v100
	v_add_f32_e32 v199, v4, v98
	v_mov_b32_e32 v102, v201
	v_fmac_f32_e32 v102, 0xbe11bafb, v199
	v_mul_f32_e32 v202, 0xbf27a4f4, v108
	v_add_f32_e32 v100, v102, v100
	v_mov_b32_e32 v102, v202
	v_mul_f32_e32 v203, 0xbe11bafb, v109
	v_fmac_f32_e32 v102, 0x3f4178ce, v111
	v_mov_b32_e32 v103, v203
	v_add_f32_e32 v102, v89, v102
	v_fmac_f32_e32 v103, 0xbf7d64f0, v113
	v_mul_f32_e32 v204, 0x3f575c64, v114
	v_add_f32_e32 v102, v103, v102
	v_mov_b32_e32 v103, v204
	v_fmac_f32_e32 v103, 0x3f0a6770, v116
	v_mul_f32_e32 v205, 0xbf75a155, v117
	v_add_f32_e32 v102, v103, v102
	v_mov_b32_e32 v103, v205
	;; [unrolled: 4-line block ×4, first 2 shown]
	v_mul_f32_e32 v208, 0x3f7d64f0, v191
	v_fmac_f32_e32 v102, 0xbf27a4f4, v187
	v_mov_b32_e32 v104, v208
	v_add_f32_e32 v102, v88, v102
	v_fmac_f32_e32 v104, 0xbe11bafb, v190
	v_mul_f32_e32 v209, 0xbf0a6770, v194
	v_add_f32_e32 v102, v104, v102
	v_mov_b32_e32 v104, v209
	v_fmac_f32_e32 v104, 0x3f575c64, v193
	v_mul_f32_e32 v210, 0xbe903f40, v197
	v_add_f32_e32 v102, v104, v102
	v_mov_b32_e32 v104, v210
	v_fmac_f32_e32 v104, 0xbf75a155, v196
	v_mul_f32_e32 v211, 0x3f68dda4, v200
	v_add_f32_e32 v102, v104, v102
	v_mov_b32_e32 v104, v211
	v_fmac_f32_e32 v104, 0x3ed4b147, v199
	v_mul_f32_e32 v212, 0xbe11bafb, v108
	v_add_f32_e32 v102, v104, v102
	v_mov_b32_e32 v104, v212
	v_mul_f32_e32 v213, 0xbf75a155, v109
	v_fmac_f32_e32 v104, 0x3f7d64f0, v111
	v_mov_b32_e32 v105, v213
	v_add_f32_e32 v91, v91, v89
	v_add_f32_e32 v104, v89, v104
	v_fmac_f32_e32 v105, 0xbe903f40, v113
	v_mul_f32_e32 v214, 0x3ed4b147, v114
	v_add_f32_e32 v91, v93, v91
	v_add_f32_e32 v104, v105, v104
	v_mov_b32_e32 v105, v214
	v_add_f32_e32 v91, v95, v91
	v_fmac_f32_e32 v105, 0xbf68dda4, v116
	v_mul_f32_e32 v215, 0x3f575c64, v117
	v_add_f32_e32 v91, v97, v91
	v_add_f32_e32 v104, v105, v104
	v_mov_b32_e32 v105, v215
	;; [unrolled: 6-line block ×4, first 2 shown]
	v_mul_f32_e32 v218, 0x3e903f40, v191
	v_add_f32_e32 v1, v3, v1
	v_add_f32_e32 v3, v90, v88
	v_fmac_f32_e32 v104, 0xbe11bafb, v187
	v_mov_b32_e32 v106, v218
	v_add_f32_e32 v3, v92, v3
	v_add_f32_e32 v104, v88, v104
	v_fmac_f32_e32 v106, 0xbf75a155, v190
	v_mul_f32_e32 v219, 0x3f68dda4, v194
	v_add_f32_e32 v3, v94, v3
	v_add_f32_e32 v104, v106, v104
	v_mov_b32_e32 v106, v219
	v_add_f32_e32 v3, v96, v3
	v_fmac_f32_e32 v106, 0x3ed4b147, v193
	v_mul_f32_e32 v220, 0xbf0a6770, v197
	v_add_f32_e32 v3, v98, v3
	v_add_f32_e32 v104, v106, v104
	v_mov_b32_e32 v106, v220
	;; [unrolled: 6-line block ×3, first 2 shown]
	v_add_f32_e32 v0, v0, v3
	v_fmac_f32_e32 v110, 0xbe903f40, v111
	v_fmac_f32_e32 v106, 0xbf27a4f4, v199
	v_mul_f32_e32 v222, 0x3ed4b147, v108
	v_add_f32_e32 v0, v2, v0
	v_add_f32_e32 v2, v89, v110
	v_fmac_f32_e32 v112, 0x3f0a6770, v113
	v_add_f32_e32 v104, v106, v104
	v_mov_b32_e32 v106, v222
	v_mul_f32_e32 v223, 0xbf27a4f4, v109
	v_add_f32_e32 v2, v112, v2
	v_fmac_f32_e32 v115, 0xbf4178ce, v116
	v_fmac_f32_e32 v106, 0x3f68dda4, v111
	v_mov_b32_e32 v107, v223
	v_add_f32_e32 v2, v115, v2
	v_fmac_f32_e32 v118, 0x3f68dda4, v119
	v_add_f32_e32 v106, v89, v106
	v_fmac_f32_e32 v107, 0x3f4178ce, v113
	v_mul_f32_e32 v224, 0xbf75a155, v114
	v_add_f32_e32 v2, v118, v2
	v_fmac_f32_e32 v166, 0xbf7d64f0, v176
	v_add_f32_e32 v106, v107, v106
	v_mov_b32_e32 v107, v224
	v_add_f32_e32 v3, v166, v2
	v_fma_f32 v2, v187, s14, -v189
	v_fmac_f32_e32 v107, 0xbe903f40, v116
	v_mul_f32_e32 v225, 0xbe11bafb, v117
	v_add_f32_e32 v2, v88, v2
	v_fma_f32 v4, v190, s4, -v192
	v_add_f32_e32 v106, v107, v106
	v_mov_b32_e32 v107, v225
	v_add_f32_e32 v2, v4, v2
	v_fma_f32 v4, v193, s13, -v195
	v_fmac_f32_e32 v107, 0xbf7d64f0, v119
	v_mul_f32_e32 v226, 0x3f575c64, v165
	v_add_f32_e32 v2, v4, v2
	v_fma_f32 v4, v196, s5, -v198
	v_add_f32_e32 v106, v107, v106
	v_mov_b32_e32 v107, v226
	v_add_f32_e32 v2, v4, v2
	v_fma_f32 v4, v199, s12, -v201
	v_fmac_f32_e32 v202, 0xbf4178ce, v111
	v_fmac_f32_e32 v107, 0xbf0a6770, v176
	v_mul_f32_e32 v227, 0xbf68dda4, v188
	v_add_f32_e32 v2, v4, v2
	v_add_f32_e32 v4, v89, v202
	v_fmac_f32_e32 v203, 0x3f7d64f0, v113
	v_add_f32_e32 v107, v107, v106
	v_mov_b32_e32 v106, v227
	v_mul_f32_e32 v228, 0xbf4178ce, v191
	v_add_f32_e32 v4, v203, v4
	v_fmac_f32_e32 v204, 0xbf0a6770, v116
	v_fmac_f32_e32 v106, 0x3ed4b147, v187
	v_mov_b32_e32 v229, v228
	v_add_f32_e32 v4, v204, v4
	v_fmac_f32_e32 v205, 0xbe903f40, v119
	v_add_f32_e32 v106, v88, v106
	v_fmac_f32_e32 v229, 0xbf27a4f4, v190
	;; [unrolled: 2-line block ×3, first 2 shown]
	v_add_f32_e32 v106, v229, v106
	v_mul_f32_e32 v229, 0x3e903f40, v194
	v_add_f32_e32 v5, v206, v4
	v_fma_f32 v4, v187, s13, -v207
	v_mov_b32_e32 v230, v229
	v_add_f32_e32 v4, v88, v4
	v_fma_f32 v6, v190, s12, -v208
	v_fmac_f32_e32 v230, 0xbf75a155, v193
	v_add_f32_e32 v4, v6, v4
	v_fma_f32 v6, v193, s4, -v209
	v_add_f32_e32 v106, v230, v106
	v_mul_f32_e32 v230, 0x3f7d64f0, v197
	v_add_f32_e32 v4, v6, v4
	v_fma_f32 v6, v196, s14, -v210
	v_mov_b32_e32 v231, v230
	v_add_f32_e32 v4, v6, v4
	v_fma_f32 v6, v199, s5, -v211
	v_fmac_f32_e32 v212, 0xbf7d64f0, v111
	v_fmac_f32_e32 v231, 0xbe11bafb, v196
	v_add_f32_e32 v4, v6, v4
	v_add_f32_e32 v6, v89, v212
	v_fmac_f32_e32 v213, 0x3e903f40, v113
	v_add_f32_e32 v106, v231, v106
	v_mul_f32_e32 v231, 0x3f0a6770, v200
	v_add_f32_e32 v6, v213, v6
	v_fmac_f32_e32 v214, 0x3f68dda4, v116
	v_mov_b32_e32 v232, v231
	v_add_f32_e32 v6, v214, v6
	v_fmac_f32_e32 v215, 0xbf0a6770, v119
	v_fmac_f32_e32 v232, 0x3f575c64, v199
	v_add_f32_e32 v6, v215, v6
	v_fmac_f32_e32 v216, 0xbf4178ce, v176
	v_add_f32_e32 v106, v232, v106
	v_mul_f32_e32 v232, 0x3f575c64, v108
	v_add_f32_e32 v7, v216, v6
	v_fma_f32 v6, v187, s12, -v217
	v_mov_b32_e32 v108, v232
	v_mul_f32_e32 v233, 0x3ed4b147, v109
	v_add_f32_e32 v6, v88, v6
	v_fma_f32 v90, v190, s14, -v218
	v_fmac_f32_e32 v108, 0x3f0a6770, v111
	v_mov_b32_e32 v109, v233
	v_add_f32_e32 v6, v90, v6
	v_fma_f32 v90, v193, s5, -v219
	v_add_f32_e32 v108, v89, v108
	v_fmac_f32_e32 v109, 0x3f68dda4, v113
	v_mul_f32_e32 v114, 0xbe11bafb, v114
	v_add_f32_e32 v6, v90, v6
	v_fma_f32 v90, v196, s4, -v220
	v_add_f32_e32 v108, v109, v108
	v_mov_b32_e32 v109, v114
	v_add_f32_e32 v6, v90, v6
	v_fma_f32 v90, v199, s13, -v221
	v_fmac_f32_e32 v222, 0xbf68dda4, v111
	v_fmac_f32_e32 v109, 0x3f7d64f0, v116
	v_mul_f32_e32 v117, 0xbf27a4f4, v117
	v_add_f32_e32 v6, v90, v6
	v_add_f32_e32 v90, v89, v222
	v_fmac_f32_e32 v223, 0xbf4178ce, v113
	v_add_f32_e32 v108, v109, v108
	v_mov_b32_e32 v109, v117
	v_add_f32_e32 v90, v223, v90
	v_fmac_f32_e32 v224, 0x3e903f40, v116
	v_fmac_f32_e32 v109, 0x3f4178ce, v119
	v_mul_f32_e32 v165, 0xbf75a155, v165
	v_add_f32_e32 v90, v224, v90
	v_fmac_f32_e32 v225, 0x3f7d64f0, v119
	v_add_f32_e32 v108, v109, v108
	v_mov_b32_e32 v109, v165
	v_add_f32_e32 v90, v225, v90
	v_fmac_f32_e32 v226, 0x3f0a6770, v176
	v_fmac_f32_e32 v109, 0x3e903f40, v176
	v_mul_f32_e32 v188, 0xbf0a6770, v188
	v_add_f32_e32 v91, v226, v90
	v_fma_f32 v90, v187, s5, -v227
	v_add_f32_e32 v109, v109, v108
	v_mov_b32_e32 v108, v188
	v_mul_f32_e32 v191, 0xbf68dda4, v191
	v_add_f32_e32 v90, v88, v90
	v_fma_f32 v92, v190, s13, -v228
	v_fmac_f32_e32 v108, 0x3f575c64, v187
	v_mov_b32_e32 v234, v191
	v_add_f32_e32 v90, v92, v90
	v_fma_f32 v92, v193, s14, -v229
	v_add_f32_e32 v108, v88, v108
	v_fmac_f32_e32 v234, 0x3ed4b147, v190
	v_mul_f32_e32 v194, 0xbf7d64f0, v194
	v_add_f32_e32 v90, v92, v90
	v_fma_f32 v92, v196, s12, -v230
	v_add_f32_e32 v108, v234, v108
	v_mov_b32_e32 v234, v194
	v_add_f32_e32 v90, v92, v90
	v_fma_f32 v92, v199, s4, -v231
	v_fmac_f32_e32 v234, 0xbe11bafb, v193
	v_mul_f32_e32 v197, 0xbf4178ce, v197
	v_add_f32_e32 v90, v92, v90
	v_fma_f32 v92, v187, s4, -v188
	v_add_f32_e32 v108, v234, v108
	v_mov_b32_e32 v234, v197
	v_fmac_f32_e32 v232, 0xbf0a6770, v111
	v_add_f32_e32 v88, v88, v92
	v_fma_f32 v92, v190, s5, -v191
	v_fmac_f32_e32 v234, 0xbf27a4f4, v196
	v_mul_f32_e32 v200, 0xbe903f40, v200
	v_add_f32_e32 v89, v89, v232
	v_fmac_f32_e32 v233, 0xbf68dda4, v113
	v_add_f32_e32 v88, v92, v88
	v_fma_f32 v92, v193, s12, -v194
	v_add_f32_e32 v108, v234, v108
	v_mov_b32_e32 v234, v200
	v_add_f32_e32 v89, v233, v89
	v_fmac_f32_e32 v114, 0xbf7d64f0, v116
	v_add_f32_e32 v88, v92, v88
	v_fma_f32 v92, v196, s13, -v197
	v_fmac_f32_e32 v234, 0xbf75a155, v199
	v_add_f32_e32 v89, v114, v89
	v_fmac_f32_e32 v117, 0xbf4178ce, v119
	v_add_f32_e32 v88, v92, v88
	v_fma_f32 v92, v199, s14, -v200
	v_add_f32_e32 v108, v234, v108
	v_add_f32_e32 v1, v146, v1
	;; [unrolled: 1-line block ×4, first 2 shown]
	v_fmac_f32_e32 v165, 0xbe903f40, v176
	v_add_f32_e32 v88, v92, v88
	v_lshlrev_b32_e32 v92, 3, v169
	v_add_f32_e32 v89, v165, v89
	ds_write2_b64 v92, v[0:1], v[108:109] offset1:1
	ds_write2_b64 v92, v[106:107], v[104:105] offset0:2 offset1:3
	ds_write2_b64 v92, v[102:103], v[100:101] offset0:4 offset1:5
	;; [unrolled: 1-line block ×4, first 2 shown]
	ds_write_b64 v92, v[88:89] offset:80
.LBB0_13:
	s_or_b64 exec, exec, s[2:3]
	v_add_u32_e32 v5, 0x1000, v167
	s_waitcnt lgkmcnt(0)
	s_barrier
	ds_read2_b64 v[94:97], v5 offset0:82 offset1:181
	v_add_u32_e32 v7, 0x2400, v167
	ds_read2_b64 v[98:101], v7 offset0:36 offset1:135
	v_add_u32_e32 v6, 0x1800, v167
	;; [unrolled: 2-line block ×3, first 2 shown]
	ds_read2_b64 v[110:113], v2 offset0:106 offset1:205
	s_waitcnt lgkmcnt(3)
	v_mul_f32_e32 v118, v13, v95
	v_mul_f32_e32 v13, v13, v94
	v_add_u32_e32 v3, 0x1c00, v167
	v_fma_f32 v13, v12, v95, -v13
	v_mul_f32_e32 v95, v9, v97
	v_mul_f32_e32 v9, v9, v96
	ds_read2_b64 v[187:190], v3 offset0:94 offset1:193
	v_add_u32_e32 v88, 0x3000, v167
	v_fmac_f32_e32 v118, v12, v94
	s_waitcnt lgkmcnt(3)
	v_mul_f32_e32 v94, v15, v99
	v_fmac_f32_e32 v95, v8, v96
	v_fma_f32 v96, v8, v97, -v9
	v_mul_f32_e32 v8, v11, v100
	ds_read2_b64 v[90:93], v167 offset1:99
	ds_read2_b64 v[191:194], v88 offset0:48 offset1:147
	v_fmac_f32_e32 v94, v14, v98
	v_mul_f32_e32 v12, v15, v98
	v_mul_f32_e32 v97, v11, v101
	v_fma_f32 v98, v10, v101, -v8
	s_waitcnt lgkmcnt(4)
	v_mul_f32_e32 v8, v17, v106
	v_add_u32_e32 v89, 0x400, v167
	v_fma_f32 v14, v14, v99, -v12
	v_fmac_f32_e32 v97, v10, v100
	v_mul_f32_e32 v99, v17, v107
	v_fma_f32 v100, v16, v107, -v8
	s_waitcnt lgkmcnt(3)
	v_mul_f32_e32 v8, v19, v110
	ds_read2_b64 v[102:105], v89 offset0:70 offset1:169
	v_add_u32_e32 v4, 0x800, v167
	v_fmac_f32_e32 v99, v16, v106
	v_fma_f32 v106, v18, v111, -v8
	v_mul_f32_e32 v107, v21, v109
	v_mul_f32_e32 v8, v21, v108
	ds_read2_b64 v[114:117], v4 offset0:140 offset1:239
	v_mul_f32_e32 v101, v19, v111
	v_fmac_f32_e32 v107, v20, v108
	v_fma_f32 v108, v20, v109, -v8
	v_mul_f32_e32 v8, v23, v112
	v_fmac_f32_e32 v101, v18, v110
	v_mul_f32_e32 v109, v23, v113
	v_fma_f32 v110, v22, v113, -v8
	s_waitcnt lgkmcnt(4)
	v_mul_f32_e32 v8, v25, v187
	v_add_f32_e32 v9, v118, v94
	v_fmac_f32_e32 v109, v22, v112
	v_fma_f32 v112, v24, v188, -v8
	s_waitcnt lgkmcnt(2)
	v_mul_f32_e32 v8, v27, v191
	v_fma_f32 v10, -0.5, v9, v90
	v_fma_f32 v119, v26, v192, -v8
	v_mul_f32_e32 v8, v29, v189
	v_sub_f32_e32 v9, v13, v14
	v_mov_b32_e32 v12, v10
	v_add_f32_e32 v11, v13, v14
	v_add_f32_e32 v21, v100, v106
	v_mul_f32_e32 v111, v25, v188
	v_mul_f32_e32 v113, v27, v192
	v_mul_f32_e32 v145, v29, v190
	v_fma_f32 v146, v28, v190, -v8
	v_mul_f32_e32 v165, v31, v194
	v_mul_f32_e32 v8, v31, v193
	v_fmac_f32_e32 v12, 0xbf5db3d7, v9
	v_fmac_f32_e32 v10, 0x3f5db3d7, v9
	v_add_f32_e32 v9, v91, v13
	v_fma_f32 v11, -0.5, v11, v91
	s_waitcnt lgkmcnt(1)
	v_fma_f32 v21, -0.5, v21, v103
	v_add_f32_e32 v31, v112, v119
	v_fmac_f32_e32 v111, v24, v187
	v_fmac_f32_e32 v113, v26, v191
	;; [unrolled: 1-line block ×4, first 2 shown]
	v_fma_f32 v166, v30, v194, -v8
	v_add_f32_e32 v8, v90, v118
	v_add_f32_e32 v9, v9, v14
	v_sub_f32_e32 v14, v118, v94
	v_mov_b32_e32 v13, v11
	v_add_f32_e32 v15, v95, v97
	v_sub_f32_e32 v24, v99, v101
	v_mov_b32_e32 v23, v21
	v_add_f32_e32 v25, v107, v109
	s_waitcnt lgkmcnt(0)
	v_fma_f32 v31, -0.5, v31, v115
	v_add_f32_e32 v8, v8, v94
	v_fmac_f32_e32 v13, 0x3f5db3d7, v14
	v_fmac_f32_e32 v11, 0xbf5db3d7, v14
	v_add_f32_e32 v14, v92, v95
	v_fma_f32 v92, -0.5, v15, v92
	v_sub_f32_e32 v18, v95, v97
	v_fmac_f32_e32 v23, 0x3f5db3d7, v24
	v_fmac_f32_e32 v21, 0xbf5db3d7, v24
	v_add_f32_e32 v24, v104, v107
	v_fma_f32 v104, -0.5, v25, v104
	v_sub_f32_e32 v94, v111, v113
	v_mov_b32_e32 v91, v31
	v_add_f32_e32 v95, v145, v165
	v_sub_f32_e32 v15, v96, v98
	v_mov_b32_e32 v16, v92
	v_add_f32_e32 v17, v96, v98
	v_add_f32_e32 v19, v99, v101
	v_sub_f32_e32 v25, v108, v110
	v_mov_b32_e32 v26, v104
	v_add_f32_e32 v27, v108, v110
	v_add_f32_e32 v29, v111, v113
	v_fmac_f32_e32 v91, 0x3f5db3d7, v94
	v_fmac_f32_e32 v31, 0xbf5db3d7, v94
	v_add_f32_e32 v94, v116, v145
	v_fma_f32 v116, -0.5, v95, v116
	v_add_f32_e32 v14, v14, v97
	v_fmac_f32_e32 v16, 0xbf5db3d7, v15
	v_fmac_f32_e32 v92, 0x3f5db3d7, v15
	v_add_f32_e32 v15, v93, v96
	v_fmac_f32_e32 v93, -0.5, v17
	v_fma_f32 v20, -0.5, v19, v102
	v_fmac_f32_e32 v26, 0xbf5db3d7, v25
	v_fmac_f32_e32 v104, 0x3f5db3d7, v25
	v_add_f32_e32 v25, v105, v108
	v_fmac_f32_e32 v105, -0.5, v27
	v_fma_f32 v30, -0.5, v29, v114
	v_sub_f32_e32 v95, v146, v166
	v_mov_b32_e32 v96, v116
	v_add_f32_e32 v97, v146, v166
	v_mov_b32_e32 v17, v93
	v_sub_f32_e32 v19, v100, v106
	v_mov_b32_e32 v22, v20
	v_sub_f32_e32 v28, v107, v109
	;; [unrolled: 2-line block ×3, first 2 shown]
	v_mov_b32_e32 v90, v30
	v_fmac_f32_e32 v96, 0xbf5db3d7, v95
	v_fmac_f32_e32 v116, 0x3f5db3d7, v95
	v_add_f32_e32 v95, v117, v146
	v_fmac_f32_e32 v117, -0.5, v97
	v_add_f32_e32 v15, v15, v98
	v_fmac_f32_e32 v17, 0x3f5db3d7, v18
	v_fmac_f32_e32 v93, 0xbf5db3d7, v18
	v_add_f32_e32 v18, v102, v99
	v_fmac_f32_e32 v22, 0xbf5db3d7, v19
	v_fmac_f32_e32 v20, 0x3f5db3d7, v19
	;; [unrolled: 3-line block ×4, first 2 shown]
	v_add_f32_e32 v29, v115, v112
	v_sub_f32_e32 v98, v145, v165
	v_mov_b32_e32 v97, v117
	v_add_f32_e32 v18, v18, v101
	v_add_f32_e32 v19, v19, v106
	;; [unrolled: 1-line block ×8, first 2 shown]
	v_fmac_f32_e32 v97, 0x3f5db3d7, v98
	v_fmac_f32_e32 v117, 0xbf5db3d7, v98
	s_barrier
	ds_write2_b64 v170, v[8:9], v[12:13] offset1:11
	ds_write_b64 v170, v[10:11] offset:176
	ds_write2_b64 v171, v[14:15], v[16:17] offset1:11
	ds_write_b64 v171, v[92:93] offset:176
	;; [unrolled: 2-line block ×6, first 2 shown]
	s_waitcnt lgkmcnt(0)
	s_barrier
	ds_read2_b64 v[8:11], v167 offset1:99
	ds_read2_b64 v[12:15], v5 offset0:82 offset1:181
	ds_read2_b64 v[16:19], v7 offset0:36 offset1:135
	ds_read2_b64 v[20:23], v89 offset0:70 offset1:169
	ds_read2_b64 v[24:27], v6 offset0:24 offset1:123
	ds_read2_b64 v[28:31], v2 offset0:106 offset1:205
	ds_read2_b64 v[90:93], v4 offset0:140 offset1:239
	ds_read2_b64 v[94:97], v3 offset0:94 offset1:193
	ds_read2_b64 v[98:101], v88 offset0:48 offset1:147
	s_waitcnt lgkmcnt(7)
	v_mul_f32_e32 v102, v37, v13
	v_fmac_f32_e32 v102, v36, v12
	v_mul_f32_e32 v12, v37, v12
	v_fma_f32 v36, v36, v13, -v12
	s_waitcnt lgkmcnt(6)
	v_mul_f32_e32 v37, v39, v17
	v_mul_f32_e32 v12, v39, v16
	v_fmac_f32_e32 v37, v38, v16
	v_fma_f32 v16, v38, v17, -v12
	v_mul_f32_e32 v38, v33, v15
	v_mul_f32_e32 v12, v33, v14
	v_fmac_f32_e32 v38, v32, v14
	v_fma_f32 v32, v32, v15, -v12
	v_mul_f32_e32 v12, v35, v18
	v_mul_f32_e32 v33, v35, v19
	v_fma_f32 v19, v34, v19, -v12
	s_waitcnt lgkmcnt(4)
	v_mul_f32_e32 v12, v41, v24
	v_fma_f32 v35, v40, v25, -v12
	s_waitcnt lgkmcnt(3)
	v_mul_f32_e32 v39, v43, v29
	v_mul_f32_e32 v12, v43, v28
	v_fmac_f32_e32 v39, v42, v28
	v_fma_f32 v28, v42, v29, -v12
	v_mul_f32_e32 v12, v45, v26
	v_fmac_f32_e32 v33, v34, v18
	v_mul_f32_e32 v34, v41, v25
	v_fma_f32 v41, v44, v27, -v12
	v_mul_f32_e32 v12, v47, v30
	v_fmac_f32_e32 v34, v40, v24
	v_mul_f32_e32 v40, v45, v27
	v_mul_f32_e32 v42, v47, v31
	v_fma_f32 v31, v46, v31, -v12
	s_waitcnt lgkmcnt(1)
	v_mul_f32_e32 v12, v49, v94
	v_fmac_f32_e32 v40, v44, v26
	v_fma_f32 v44, v48, v95, -v12
	s_waitcnt lgkmcnt(0)
	v_mul_f32_e32 v12, v51, v98
	v_fmac_f32_e32 v42, v46, v30
	v_mul_f32_e32 v43, v49, v95
	v_fma_f32 v46, v50, v99, -v12
	v_mul_f32_e32 v12, v53, v96
	v_fmac_f32_e32 v43, v48, v94
	v_mul_f32_e32 v45, v51, v99
	v_fma_f32 v48, v52, v97, -v12
	v_mul_f32_e32 v12, v55, v100
	v_add_f32_e32 v13, v102, v37
	v_fmac_f32_e32 v45, v50, v98
	v_fma_f32 v50, v54, v101, -v12
	v_add_f32_e32 v12, v8, v102
	v_fma_f32 v8, -0.5, v13, v8
	v_sub_f32_e32 v13, v36, v16
	v_mov_b32_e32 v14, v8
	v_add_f32_e32 v15, v36, v16
	v_fmac_f32_e32 v14, 0xbf5db3d7, v13
	v_fmac_f32_e32 v8, 0x3f5db3d7, v13
	v_add_f32_e32 v13, v9, v36
	v_fma_f32 v9, -0.5, v15, v9
	v_add_f32_e32 v13, v13, v16
	v_sub_f32_e32 v16, v102, v37
	v_mov_b32_e32 v15, v9
	v_add_f32_e32 v17, v38, v33
	v_fmac_f32_e32 v15, 0x3f5db3d7, v16
	v_fmac_f32_e32 v9, 0xbf5db3d7, v16
	v_add_f32_e32 v16, v10, v38
	v_fma_f32 v10, -0.5, v17, v10
	v_sub_f32_e32 v17, v32, v19
	v_mov_b32_e32 v18, v10
	v_fmac_f32_e32 v18, 0xbf5db3d7, v17
	v_fmac_f32_e32 v10, 0x3f5db3d7, v17
	v_add_f32_e32 v17, v11, v32
	v_add_f32_e32 v17, v17, v19
	;; [unrolled: 1-line block ×3, first 2 shown]
	v_fmac_f32_e32 v11, -0.5, v19
	v_sub_f32_e32 v24, v38, v33
	v_mov_b32_e32 v19, v11
	v_add_f32_e32 v25, v34, v39
	v_fmac_f32_e32 v19, 0x3f5db3d7, v24
	v_fmac_f32_e32 v11, 0xbf5db3d7, v24
	v_add_f32_e32 v24, v20, v34
	v_fma_f32 v20, -0.5, v25, v20
	v_sub_f32_e32 v25, v35, v28
	v_mov_b32_e32 v26, v20
	v_add_f32_e32 v27, v35, v28
	v_fmac_f32_e32 v26, 0xbf5db3d7, v25
	v_fmac_f32_e32 v20, 0x3f5db3d7, v25
	v_add_f32_e32 v25, v21, v35
	v_fma_f32 v21, -0.5, v27, v21
	v_add_f32_e32 v25, v25, v28
	v_sub_f32_e32 v28, v34, v39
	v_mov_b32_e32 v27, v21
	v_add_f32_e32 v29, v40, v42
	v_mul_f32_e32 v47, v53, v97
	v_mul_f32_e32 v49, v55, v101
	v_fmac_f32_e32 v27, 0x3f5db3d7, v28
	v_fmac_f32_e32 v21, 0xbf5db3d7, v28
	v_add_f32_e32 v28, v22, v40
	v_fma_f32 v22, -0.5, v29, v22
	v_add_f32_e32 v35, v44, v46
	v_fmac_f32_e32 v47, v52, v96
	v_fmac_f32_e32 v49, v54, v100
	v_sub_f32_e32 v29, v41, v31
	v_mov_b32_e32 v30, v22
	v_fma_f32 v35, -0.5, v35, v91
	v_add_f32_e32 v12, v12, v37
	v_add_f32_e32 v24, v24, v39
	v_fmac_f32_e32 v30, 0xbf5db3d7, v29
	v_fmac_f32_e32 v22, 0x3f5db3d7, v29
	v_add_f32_e32 v29, v23, v41
	v_sub_f32_e32 v38, v43, v45
	v_mov_b32_e32 v37, v35
	v_add_f32_e32 v39, v47, v49
	v_add_f32_e32 v16, v16, v33
	;; [unrolled: 1-line block ×5, first 2 shown]
	v_fmac_f32_e32 v37, 0x3f5db3d7, v38
	v_fmac_f32_e32 v35, 0xbf5db3d7, v38
	v_add_f32_e32 v38, v92, v47
	v_fma_f32 v92, -0.5, v39, v92
	v_fmac_f32_e32 v23, -0.5, v31
	v_sub_f32_e32 v32, v40, v42
	v_fma_f32 v34, -0.5, v33, v90
	v_sub_f32_e32 v39, v48, v50
	v_mov_b32_e32 v40, v92
	v_add_f32_e32 v41, v48, v50
	v_mov_b32_e32 v31, v23
	v_sub_f32_e32 v33, v44, v46
	v_mov_b32_e32 v36, v34
	v_fmac_f32_e32 v40, 0xbf5db3d7, v39
	v_fmac_f32_e32 v92, 0x3f5db3d7, v39
	v_add_f32_e32 v39, v93, v48
	v_fmac_f32_e32 v93, -0.5, v41
	v_add_f32_e32 v28, v28, v42
	v_fmac_f32_e32 v31, 0x3f5db3d7, v32
	v_fmac_f32_e32 v23, 0xbf5db3d7, v32
	v_add_f32_e32 v32, v90, v43
	v_fmac_f32_e32 v36, 0xbf5db3d7, v33
	v_fmac_f32_e32 v34, 0x3f5db3d7, v33
	v_add_f32_e32 v33, v91, v44
	v_sub_f32_e32 v42, v47, v49
	v_mov_b32_e32 v41, v93
	v_add_f32_e32 v32, v32, v45
	v_add_f32_e32 v33, v33, v46
	v_add_f32_e32 v38, v38, v49
	v_add_f32_e32 v39, v39, v50
	v_fmac_f32_e32 v41, 0x3f5db3d7, v42
	v_fmac_f32_e32 v93, 0xbf5db3d7, v42
	s_barrier
	ds_write2_b64 v177, v[12:13], v[14:15] offset1:33
	ds_write_b64 v177, v[8:9] offset:528
	ds_write2_b64 v178, v[16:17], v[18:19] offset1:33
	ds_write_b64 v178, v[10:11] offset:528
	;; [unrolled: 2-line block ×6, first 2 shown]
	s_waitcnt lgkmcnt(0)
	s_barrier
	ds_read2_b64 v[8:11], v167 offset1:99
	ds_read2_b64 v[12:15], v5 offset0:82 offset1:181
	ds_read2_b64 v[16:19], v7 offset0:36 offset1:135
	;; [unrolled: 1-line block ×8, first 2 shown]
	s_waitcnt lgkmcnt(7)
	v_mul_f32_e32 v44, v57, v13
	v_fmac_f32_e32 v44, v56, v12
	v_mul_f32_e32 v12, v57, v12
	v_fma_f32 v45, v56, v13, -v12
	s_waitcnt lgkmcnt(6)
	v_mul_f32_e32 v46, v59, v17
	v_mul_f32_e32 v12, v59, v16
	v_fmac_f32_e32 v46, v58, v16
	v_fma_f32 v16, v58, v17, -v12
	v_mul_f32_e32 v12, v57, v14
	v_fma_f32 v48, v56, v15, -v12
	v_mul_f32_e32 v12, v59, v18
	v_mul_f32_e32 v49, v59, v19
	v_fma_f32 v19, v58, v19, -v12
	s_waitcnt lgkmcnt(4)
	v_mul_f32_e32 v12, v61, v24
	v_fma_f32 v51, v60, v25, -v12
	s_waitcnt lgkmcnt(3)
	v_mul_f32_e32 v52, v63, v29
	v_mul_f32_e32 v12, v63, v28
	v_fmac_f32_e32 v52, v62, v28
	v_fma_f32 v28, v62, v29, -v12
	v_mul_f32_e32 v12, v65, v26
	v_fma_f32 v54, v64, v27, -v12
	v_mul_f32_e32 v12, v67, v30
	v_mul_f32_e32 v55, v67, v31
	v_fma_f32 v31, v66, v31, -v12
	s_waitcnt lgkmcnt(1)
	v_mul_f32_e32 v12, v69, v36
	v_mul_f32_e32 v47, v57, v15
	v_fmac_f32_e32 v49, v58, v18
	v_fma_f32 v57, v68, v37, -v12
	s_waitcnt lgkmcnt(0)
	v_mul_f32_e32 v58, v71, v41
	v_mul_f32_e32 v12, v71, v40
	;; [unrolled: 1-line block ×3, first 2 shown]
	v_fmac_f32_e32 v58, v70, v40
	v_fma_f32 v40, v70, v41, -v12
	v_mul_f32_e32 v12, v73, v38
	v_fmac_f32_e32 v50, v60, v24
	v_fma_f32 v60, v72, v39, -v12
	v_mul_f32_e32 v12, v75, v42
	v_add_f32_e32 v13, v44, v46
	v_mul_f32_e32 v61, v75, v43
	v_fma_f32 v43, v74, v43, -v12
	v_add_f32_e32 v12, v8, v44
	v_fma_f32 v8, -0.5, v13, v8
	v_fmac_f32_e32 v47, v56, v14
	v_sub_f32_e32 v13, v45, v16
	v_mov_b32_e32 v14, v8
	v_add_f32_e32 v15, v45, v16
	v_fmac_f32_e32 v14, 0xbf5db3d7, v13
	v_fmac_f32_e32 v8, 0x3f5db3d7, v13
	v_add_f32_e32 v13, v9, v45
	v_fma_f32 v9, -0.5, v15, v9
	v_add_f32_e32 v13, v13, v16
	v_sub_f32_e32 v16, v44, v46
	v_mov_b32_e32 v15, v9
	v_add_f32_e32 v17, v47, v49
	v_fmac_f32_e32 v15, 0x3f5db3d7, v16
	v_fmac_f32_e32 v9, 0xbf5db3d7, v16
	v_add_f32_e32 v16, v10, v47
	v_fma_f32 v10, -0.5, v17, v10
	v_sub_f32_e32 v17, v48, v19
	v_mov_b32_e32 v18, v10
	v_fmac_f32_e32 v18, 0xbf5db3d7, v17
	v_fmac_f32_e32 v10, 0x3f5db3d7, v17
	v_add_f32_e32 v17, v11, v48
	v_add_f32_e32 v17, v17, v19
	;; [unrolled: 1-line block ×3, first 2 shown]
	v_fmac_f32_e32 v11, -0.5, v19
	v_sub_f32_e32 v24, v47, v49
	v_mov_b32_e32 v19, v11
	v_add_f32_e32 v25, v50, v52
	v_mul_f32_e32 v53, v65, v27
	v_fmac_f32_e32 v19, 0x3f5db3d7, v24
	v_fmac_f32_e32 v11, 0xbf5db3d7, v24
	v_add_f32_e32 v24, v20, v50
	v_fma_f32 v20, -0.5, v25, v20
	v_fmac_f32_e32 v53, v64, v26
	v_sub_f32_e32 v25, v51, v28
	v_mov_b32_e32 v26, v20
	v_add_f32_e32 v27, v51, v28
	v_fmac_f32_e32 v55, v66, v30
	v_fmac_f32_e32 v26, 0xbf5db3d7, v25
	;; [unrolled: 1-line block ×3, first 2 shown]
	v_add_f32_e32 v25, v21, v51
	v_fma_f32 v21, -0.5, v27, v21
	v_add_f32_e32 v25, v25, v28
	v_sub_f32_e32 v28, v50, v52
	v_mov_b32_e32 v27, v21
	v_add_f32_e32 v29, v53, v55
	v_fmac_f32_e32 v27, 0x3f5db3d7, v28
	v_fmac_f32_e32 v21, 0xbf5db3d7, v28
	v_add_f32_e32 v28, v22, v53
	v_fma_f32 v22, -0.5, v29, v22
	v_sub_f32_e32 v29, v54, v31
	v_mov_b32_e32 v30, v22
	v_fmac_f32_e32 v30, 0xbf5db3d7, v29
	v_fmac_f32_e32 v22, 0x3f5db3d7, v29
	v_add_f32_e32 v29, v23, v54
	v_mul_f32_e32 v56, v69, v37
	v_add_f32_e32 v29, v29, v31
	v_add_f32_e32 v31, v54, v31
	v_fmac_f32_e32 v56, v68, v36
	v_fmac_f32_e32 v23, -0.5, v31
	v_sub_f32_e32 v36, v53, v55
	v_mov_b32_e32 v31, v23
	v_add_f32_e32 v37, v56, v58
	v_mul_f32_e32 v59, v73, v39
	v_fmac_f32_e32 v31, 0x3f5db3d7, v36
	v_fmac_f32_e32 v23, 0xbf5db3d7, v36
	v_add_f32_e32 v36, v32, v56
	v_fma_f32 v32, -0.5, v37, v32
	v_fmac_f32_e32 v59, v72, v38
	v_sub_f32_e32 v37, v57, v40
	v_mov_b32_e32 v38, v32
	v_add_f32_e32 v39, v57, v40
	v_fmac_f32_e32 v61, v74, v42
	v_fmac_f32_e32 v38, 0xbf5db3d7, v37
	;; [unrolled: 1-line block ×3, first 2 shown]
	v_add_f32_e32 v37, v33, v57
	v_fma_f32 v33, -0.5, v39, v33
	v_add_f32_e32 v37, v37, v40
	v_sub_f32_e32 v40, v56, v58
	v_mov_b32_e32 v39, v33
	v_add_f32_e32 v41, v59, v61
	v_fmac_f32_e32 v39, 0x3f5db3d7, v40
	v_fmac_f32_e32 v33, 0xbf5db3d7, v40
	v_add_f32_e32 v40, v34, v59
	v_fma_f32 v34, -0.5, v41, v34
	v_sub_f32_e32 v41, v60, v43
	v_mov_b32_e32 v42, v34
	v_add_f32_e32 v12, v12, v46
	v_fmac_f32_e32 v42, 0xbf5db3d7, v41
	v_fmac_f32_e32 v34, 0x3f5db3d7, v41
	v_add_f32_e32 v41, v35, v60
	v_add_f32_e32 v16, v16, v49
	;; [unrolled: 1-line block ×5, first 2 shown]
	s_barrier
	ds_write2_b64 v167, v[12:13], v[14:15] offset1:99
	ds_write2_b64 v89, v[8:9], v[16:17] offset0:70 offset1:169
	ds_write2_b64 v4, v[18:19], v[10:11] offset0:140 offset1:239
	v_add_u32_e32 v8, 0x1000, v183
	v_add_f32_e32 v28, v28, v55
	v_fmac_f32_e32 v35, -0.5, v43
	ds_write2_b64 v8, v[24:25], v[26:27] offset0:82 offset1:181
	ds_write_b64 v183, v[20:21] offset:6336
	v_add_u32_e32 v8, 0x1800, v184
	v_add_f32_e32 v36, v36, v58
	v_sub_f32_e32 v44, v59, v61
	v_mov_b32_e32 v43, v35
	ds_write2_b64 v8, v[28:29], v[30:31] offset0:123 offset1:222
	ds_write_b64 v184, v[22:23] offset:8712
	v_add_u32_e32 v8, 0x2400, v185
	v_add_f32_e32 v40, v40, v61
	v_fmac_f32_e32 v43, 0x3f5db3d7, v44
	v_fmac_f32_e32 v35, 0xbf5db3d7, v44
	ds_write2_b64 v8, v[36:37], v[38:39] offset0:36 offset1:135
	ds_write_b64 v185, v[32:33] offset:11088
	v_add_u32_e32 v8, 0x2c00, v186
	ds_write2_b64 v8, v[40:41], v[42:43] offset0:77 offset1:176
	ds_write_b64 v186, v[34:35] offset:13464
	s_waitcnt lgkmcnt(0)
	s_barrier
	ds_read2_b64 v[8:11], v167 offset1:99
	ds_read2_b64 v[12:15], v5 offset0:82 offset1:181
	ds_read2_b64 v[16:19], v7 offset0:36 offset1:135
	;; [unrolled: 1-line block ×8, first 2 shown]
	s_waitcnt lgkmcnt(7)
	v_mul_f32_e32 v44, v77, v13
	v_fmac_f32_e32 v44, v76, v12
	v_mul_f32_e32 v12, v77, v12
	v_fma_f32 v45, v76, v13, -v12
	s_waitcnt lgkmcnt(6)
	v_mul_f32_e32 v46, v79, v17
	v_mul_f32_e32 v12, v79, v16
	v_fmac_f32_e32 v46, v78, v16
	v_fma_f32 v16, v78, v17, -v12
	v_mul_f32_e32 v12, v81, v14
	v_fma_f32 v48, v80, v15, -v12
	v_mul_f32_e32 v12, v83, v18
	v_mul_f32_e32 v49, v83, v19
	v_fma_f32 v19, v82, v19, -v12
	s_waitcnt lgkmcnt(4)
	v_mul_f32_e32 v12, v85, v24
	v_fma_f32 v51, v84, v25, -v12
	s_waitcnt lgkmcnt(3)
	v_mul_f32_e32 v52, v87, v29
	v_mul_f32_e32 v12, v87, v28
	v_fmac_f32_e32 v52, v86, v28
	v_fma_f32 v28, v86, v29, -v12
	v_mul_f32_e32 v12, v77, v26
	v_fma_f32 v54, v76, v27, -v12
	v_mul_f32_e32 v12, v79, v30
	v_mul_f32_e32 v55, v79, v31
	v_fma_f32 v31, v78, v31, -v12
	s_waitcnt lgkmcnt(1)
	v_mul_f32_e32 v12, v81, v36
	v_fma_f32 v57, v80, v37, -v12
	s_waitcnt lgkmcnt(0)
	v_mul_f32_e32 v58, v83, v41
	v_mul_f32_e32 v12, v83, v40
	v_fmac_f32_e32 v58, v82, v40
	v_fma_f32 v40, v82, v41, -v12
	v_mul_f32_e32 v12, v85, v38
	v_fma_f32 v60, v84, v39, -v12
	v_mul_f32_e32 v12, v87, v42
	v_add_f32_e32 v13, v44, v46
	v_mul_f32_e32 v47, v81, v15
	v_mul_f32_e32 v61, v87, v43
	v_fma_f32 v43, v86, v43, -v12
	v_add_f32_e32 v12, v8, v44
	v_fma_f32 v8, -0.5, v13, v8
	v_fmac_f32_e32 v47, v80, v14
	v_sub_f32_e32 v13, v45, v16
	v_mov_b32_e32 v14, v8
	v_add_f32_e32 v15, v45, v16
	v_fmac_f32_e32 v49, v82, v18
	v_fmac_f32_e32 v14, 0xbf5db3d7, v13
	;; [unrolled: 1-line block ×3, first 2 shown]
	v_add_f32_e32 v13, v9, v45
	v_fma_f32 v9, -0.5, v15, v9
	v_add_f32_e32 v13, v13, v16
	v_sub_f32_e32 v16, v44, v46
	v_mov_b32_e32 v15, v9
	v_add_f32_e32 v17, v47, v49
	v_fmac_f32_e32 v15, 0x3f5db3d7, v16
	v_fmac_f32_e32 v9, 0xbf5db3d7, v16
	v_add_f32_e32 v16, v10, v47
	v_fma_f32 v10, -0.5, v17, v10
	v_sub_f32_e32 v17, v48, v19
	v_mov_b32_e32 v18, v10
	v_fmac_f32_e32 v18, 0xbf5db3d7, v17
	v_fmac_f32_e32 v10, 0x3f5db3d7, v17
	v_add_f32_e32 v17, v11, v48
	v_mul_f32_e32 v50, v85, v25
	v_add_f32_e32 v17, v17, v19
	v_add_f32_e32 v19, v48, v19
	v_fmac_f32_e32 v50, v84, v24
	v_fmac_f32_e32 v11, -0.5, v19
	v_sub_f32_e32 v24, v47, v49
	v_mov_b32_e32 v19, v11
	v_add_f32_e32 v25, v50, v52
	v_mul_f32_e32 v53, v77, v27
	v_fmac_f32_e32 v19, 0x3f5db3d7, v24
	v_fmac_f32_e32 v11, 0xbf5db3d7, v24
	v_add_f32_e32 v24, v20, v50
	v_fma_f32 v20, -0.5, v25, v20
	v_fmac_f32_e32 v53, v76, v26
	v_sub_f32_e32 v25, v51, v28
	v_mov_b32_e32 v26, v20
	v_add_f32_e32 v27, v51, v28
	v_fmac_f32_e32 v55, v78, v30
	v_fmac_f32_e32 v26, 0xbf5db3d7, v25
	;; [unrolled: 1-line block ×3, first 2 shown]
	v_add_f32_e32 v25, v21, v51
	v_fma_f32 v21, -0.5, v27, v21
	v_add_f32_e32 v25, v25, v28
	v_sub_f32_e32 v28, v50, v52
	v_mov_b32_e32 v27, v21
	v_add_f32_e32 v29, v53, v55
	v_fmac_f32_e32 v27, 0x3f5db3d7, v28
	v_fmac_f32_e32 v21, 0xbf5db3d7, v28
	v_add_f32_e32 v28, v22, v53
	v_fma_f32 v22, -0.5, v29, v22
	v_sub_f32_e32 v29, v54, v31
	v_mov_b32_e32 v30, v22
	v_fmac_f32_e32 v30, 0xbf5db3d7, v29
	v_fmac_f32_e32 v22, 0x3f5db3d7, v29
	v_add_f32_e32 v29, v23, v54
	v_mul_f32_e32 v56, v81, v37
	v_add_f32_e32 v29, v29, v31
	v_add_f32_e32 v31, v54, v31
	v_fmac_f32_e32 v56, v80, v36
	v_fmac_f32_e32 v23, -0.5, v31
	v_sub_f32_e32 v36, v53, v55
	v_mov_b32_e32 v31, v23
	v_add_f32_e32 v37, v56, v58
	v_mul_f32_e32 v59, v85, v39
	v_fmac_f32_e32 v31, 0x3f5db3d7, v36
	v_fmac_f32_e32 v23, 0xbf5db3d7, v36
	v_add_f32_e32 v36, v32, v56
	v_fma_f32 v32, -0.5, v37, v32
	v_fmac_f32_e32 v59, v84, v38
	v_sub_f32_e32 v37, v57, v40
	v_mov_b32_e32 v38, v32
	v_add_f32_e32 v39, v57, v40
	v_fmac_f32_e32 v61, v86, v42
	v_fmac_f32_e32 v38, 0xbf5db3d7, v37
	;; [unrolled: 1-line block ×3, first 2 shown]
	v_add_f32_e32 v37, v33, v57
	v_fma_f32 v33, -0.5, v39, v33
	v_add_f32_e32 v37, v37, v40
	v_sub_f32_e32 v40, v56, v58
	v_mov_b32_e32 v39, v33
	v_add_f32_e32 v41, v59, v61
	v_fmac_f32_e32 v39, 0x3f5db3d7, v40
	v_fmac_f32_e32 v33, 0xbf5db3d7, v40
	v_add_f32_e32 v40, v34, v59
	v_fma_f32 v34, -0.5, v41, v34
	v_sub_f32_e32 v41, v60, v43
	v_mov_b32_e32 v42, v34
	v_fmac_f32_e32 v42, 0xbf5db3d7, v41
	v_fmac_f32_e32 v34, 0x3f5db3d7, v41
	v_add_f32_e32 v41, v35, v60
	v_add_f32_e32 v41, v41, v43
	;; [unrolled: 1-line block ×3, first 2 shown]
	v_fmac_f32_e32 v35, -0.5, v43
	v_sub_f32_e32 v44, v59, v61
	v_mov_b32_e32 v43, v35
	v_add_f32_e32 v12, v12, v46
	v_add_f32_e32 v16, v16, v49
	v_add_f32_e32 v24, v24, v52
	v_add_f32_e32 v28, v28, v55
	v_add_f32_e32 v36, v36, v58
	v_add_f32_e32 v40, v40, v61
	v_fmac_f32_e32 v43, 0x3f5db3d7, v44
	v_fmac_f32_e32 v35, 0xbf5db3d7, v44
	s_barrier
	ds_write2_b64 v167, v[12:13], v[16:17] offset1:99
	ds_write2_b64 v5, v[8:9], v[10:11] offset0:82 offset1:181
	ds_write2_b64 v89, v[24:25], v[14:15] offset0:70 offset1:169
	;; [unrolled: 1-line block ×8, first 2 shown]
	s_waitcnt lgkmcnt(0)
	s_barrier
	ds_read2_b64 v[8:11], v167 offset1:99
	ds_read2_b64 v[12:15], v6 offset0:24 offset1:123
	ds_read2_b64 v[16:19], v3 offset0:94 offset1:193
	ds_read2_b64 v[20:23], v89 offset0:70 offset1:169
	ds_read2_b64 v[24:27], v7 offset0:36 offset1:135
	ds_read2_b64 v[28:31], v4 offset0:140 offset1:239
	ds_read2_b64 v[32:35], v2 offset0:106 offset1:205
	ds_read2_b64 v[36:39], v5 offset0:82 offset1:181
	ds_read2_b64 v[40:43], v88 offset0:48 offset1:147
	s_waitcnt lgkmcnt(7)
	v_mul_f32_e32 v44, v148, v15
	v_fmac_f32_e32 v44, v147, v14
	v_mul_f32_e32 v14, v148, v14
	v_fma_f32 v15, v147, v15, -v14
	s_waitcnt lgkmcnt(6)
	v_mul_f32_e32 v14, v150, v16
	v_mul_f32_e32 v45, v150, v17
	v_fma_f32 v17, v149, v17, -v14
	v_mul_f32_e32 v14, v152, v18
	v_mul_f32_e32 v46, v152, v19
	v_fma_f32 v19, v151, v19, -v14
	s_waitcnt lgkmcnt(4)
	v_mul_f32_e32 v14, v154, v24
	v_mul_f32_e32 v47, v154, v25
	v_fma_f32 v25, v153, v25, -v14
	v_mul_f32_e32 v14, v156, v26
	;; [unrolled: 7-line block ×3, first 2 shown]
	v_mul_f32_e32 v50, v160, v35
	v_fma_f32 v35, v159, v35, -v14
	s_waitcnt lgkmcnt(0)
	v_mul_f32_e32 v14, v162, v40
	v_fmac_f32_e32 v45, v149, v16
	v_mul_f32_e32 v51, v162, v41
	v_fma_f32 v41, v161, v41, -v14
	v_mul_f32_e32 v52, v164, v43
	v_mul_f32_e32 v14, v164, v42
	v_fmac_f32_e32 v46, v151, v18
	v_fmac_f32_e32 v47, v153, v24
	;; [unrolled: 1-line block ×7, first 2 shown]
	v_fma_f32 v43, v163, v43, -v14
	v_sub_f32_e32 v14, v8, v44
	v_sub_f32_e32 v15, v9, v15
	v_sub_f32_e32 v16, v10, v45
	v_sub_f32_e32 v17, v11, v17
	v_fma_f32 v8, v8, 2.0, -v14
	v_fma_f32 v9, v9, 2.0, -v15
	;; [unrolled: 1-line block ×4, first 2 shown]
	v_sub_f32_e32 v18, v20, v46
	v_sub_f32_e32 v19, v21, v19
	;; [unrolled: 1-line block ×14, first 2 shown]
	v_fma_f32 v20, v20, 2.0, -v18
	v_fma_f32 v21, v21, 2.0, -v19
	;; [unrolled: 1-line block ×14, first 2 shown]
	ds_write2_b64 v167, v[8:9], v[10:11] offset1:99
	ds_write2_b64 v3, v[16:17], v[18:19] offset0:94 offset1:193
	ds_write2_b64 v89, v[20:21], v[22:23] offset0:70 offset1:169
	ds_write2_b64 v7, v[24:25], v[26:27] offset0:36 offset1:135
	ds_write2_b64 v4, v[28:29], v[30:31] offset0:140 offset1:239
	ds_write2_b64 v2, v[32:33], v[34:35] offset0:106 offset1:205
	ds_write2_b64 v5, v[36:37], v[38:39] offset0:82 offset1:181
	ds_write2_b64 v6, v[12:13], v[14:15] offset0:24 offset1:123
	ds_write2_b64 v88, v[40:41], v[42:43] offset0:48 offset1:147
	s_waitcnt lgkmcnt(0)
	s_barrier
	ds_read2_b64 v[5:8], v167 offset1:162
	v_mad_u64_u32 v[0:1], s[2:3], s10, v136, 0
	v_mad_u64_u32 v[12:13], s[4:5], s8, v168, 0
	;; [unrolled: 1-line block ×3, first 2 shown]
	s_waitcnt lgkmcnt(0)
	v_mul_f32_e32 v1, v144, v6
	v_fmac_f32_e32 v1, v143, v5
	v_cvt_f64_f32_e32 v[10:11], v1
	v_mul_f32_e32 v1, v144, v5
	v_fma_f32 v1, v143, v6, -v1
	v_cvt_f64_f32_e32 v[5:6], v1
	s_mov_b32 s2, 0x7210aa18
	s_mov_b32 s3, 0x3f426369
	v_mul_f64 v[10:11], v[10:11], s[2:3]
	v_mul_f64 v[5:6], v[5:6], s[2:3]
	v_mov_b32_e32 v1, v9
	v_mov_b32_e32 v9, v13
	v_lshlrev_b64 v[0:1], 3, v[0:1]
	s_movk_i32 s11, 0x1000
	s_movk_i32 s10, 0x3000
	v_mad_u64_u32 v[13:14], s[4:5], s9, v168, v[9:10]
	v_cvt_f32_f64_e32 v9, v[10:11]
	v_cvt_f32_f64_e32 v10, v[5:6]
	v_mul_f32_e32 v5, v142, v8
	v_fmac_f32_e32 v5, v141, v7
	v_cvt_f64_f32_e32 v[5:6], v5
	v_mul_f32_e32 v7, v142, v7
	v_fma_f32 v7, v141, v8, -v7
	v_mov_b32_e32 v11, s7
	v_cvt_f64_f32_e32 v[7:8], v7
	v_add_co_u32_e32 v14, vcc, s6, v0
	v_addc_co_u32_e32 v15, vcc, v11, v1, vcc
	v_mul_f64 v[0:1], v[5:6], s[2:3]
	v_lshlrev_b64 v[5:6], 3, v[12:13]
	v_mul_f64 v[11:12], v[7:8], s[2:3]
	v_add_co_u32_e32 v13, vcc, v14, v5
	v_addc_co_u32_e32 v14, vcc, v15, v6, vcc
	ds_read2_b64 v[4:7], v4 offset0:68 offset1:230
	global_store_dwordx2 v[13:14], v[9:10], off
	s_mul_i32 s4, s9, 0xa2
	s_mul_hi_u32 s5, s8, 0xa2
	v_cvt_f32_f64_e32 v0, v[0:1]
	s_waitcnt lgkmcnt(0)
	v_mul_f32_e32 v8, v138, v5
	v_fmac_f32_e32 v8, v137, v4
	v_mul_f32_e32 v4, v138, v4
	v_fma_f32 v4, v137, v5, -v4
	v_cvt_f64_f32_e32 v[4:5], v4
	v_cvt_f64_f32_e32 v[8:9], v8
	v_cvt_f32_f64_e32 v1, v[11:12]
	s_add_i32 s5, s5, s4
	v_mul_f64 v[4:5], v[4:5], s[2:3]
	v_mul_f64 v[8:9], v[8:9], s[2:3]
	s_mul_i32 s4, s8, 0xa2
	s_lshl_b64 s[4:5], s[4:5], 3
	v_mov_b32_e32 v16, s5
	v_add_co_u32_e32 v10, vcc, s4, v13
	v_addc_co_u32_e32 v11, vcc, v14, v16, vcc
	global_store_dwordx2 v[10:11], v[0:1], off
	v_cvt_f32_f64_e32 v1, v[4:5]
	v_mul_f32_e32 v4, v133, v7
	v_fmac_f32_e32 v4, v132, v6
	v_cvt_f32_f64_e32 v0, v[8:9]
	v_cvt_f64_f32_e32 v[8:9], v4
	v_mul_f32_e32 v4, v133, v6
	v_fma_f32 v4, v132, v7, -v4
	v_cvt_f64_f32_e32 v[12:13], v4
	v_add_u32_e32 v4, 0x1400, v167
	ds_read2_b64 v[4:7], v4 offset0:8 offset1:170
	v_mul_f64 v[8:9], v[8:9], s[2:3]
	v_mul_f64 v[12:13], v[12:13], s[2:3]
	v_add_co_u32_e32 v10, vcc, s4, v10
	s_waitcnt lgkmcnt(0)
	v_mul_f32_e32 v14, v140, v5
	v_fmac_f32_e32 v14, v139, v4
	v_mul_f32_e32 v4, v140, v4
	v_fma_f32 v4, v139, v5, -v4
	v_cvt_f64_f32_e32 v[4:5], v4
	v_cvt_f64_f32_e32 v[14:15], v14
	v_addc_co_u32_e32 v11, vcc, v11, v16, vcc
	v_mul_f64 v[4:5], v[4:5], s[2:3]
	global_store_dwordx2 v[10:11], v[0:1], off
	v_cvt_f32_f64_e32 v0, v[8:9]
	v_mul_f64 v[8:9], v[14:15], s[2:3]
	v_cvt_f32_f64_e32 v1, v[12:13]
	v_add_co_u32_e32 v10, vcc, s4, v10
	v_addc_co_u32_e32 v11, vcc, v11, v16, vcc
	global_store_dwordx2 v[10:11], v[0:1], off
	v_cvt_f32_f64_e32 v1, v[4:5]
	v_mul_f32_e32 v4, v135, v7
	v_fmac_f32_e32 v4, v134, v6
	v_cvt_f32_f64_e32 v0, v[8:9]
	v_cvt_f64_f32_e32 v[8:9], v4
	v_mul_f32_e32 v4, v135, v6
	v_fma_f32 v4, v134, v7, -v4
	v_cvt_f64_f32_e32 v[12:13], v4
	ds_read2_b64 v[3:6], v3 offset0:76 offset1:238
	v_mul_f64 v[7:8], v[8:9], s[2:3]
	v_add_co_u32_e32 v10, vcc, s4, v10
	v_mul_f64 v[12:13], v[12:13], s[2:3]
	s_waitcnt lgkmcnt(0)
	v_mul_f32_e32 v9, v131, v4
	v_fmac_f32_e32 v9, v130, v3
	v_mul_f32_e32 v3, v131, v3
	v_fma_f32 v3, v130, v4, -v3
	v_cvt_f64_f32_e32 v[14:15], v9
	v_cvt_f64_f32_e32 v[3:4], v3
	v_addc_co_u32_e32 v11, vcc, v11, v16, vcc
	global_store_dwordx2 v[10:11], v[0:1], off
	v_cvt_f32_f64_e32 v0, v[7:8]
	v_mul_f64 v[7:8], v[14:15], s[2:3]
	v_mul_f64 v[3:4], v[3:4], s[2:3]
	v_cvt_f32_f64_e32 v1, v[12:13]
	v_add_co_u32_e32 v9, vcc, s4, v10
	v_addc_co_u32_e32 v10, vcc, v11, v16, vcc
	global_store_dwordx2 v[9:10], v[0:1], off
	v_mul_f32_e32 v0, v127, v6
	v_fmac_f32_e32 v0, v126, v5
	v_cvt_f64_f32_e32 v[11:12], v0
	v_mul_f32_e32 v0, v127, v5
	v_fma_f32 v0, v126, v6, -v0
	v_cvt_f32_f64_e32 v7, v[7:8]
	v_cvt_f32_f64_e32 v8, v[3:4]
	v_cvt_f64_f32_e32 v[4:5], v0
	ds_read2_b64 v[0:3], v2 offset0:16 offset1:178
	v_mul_f64 v[11:12], v[11:12], s[2:3]
	v_add_co_u32_e32 v9, vcc, s4, v9
	v_mul_f64 v[4:5], v[4:5], s[2:3]
	s_waitcnt lgkmcnt(0)
	v_mul_f32_e32 v6, v129, v1
	v_fmac_f32_e32 v6, v128, v0
	v_mul_f32_e32 v0, v129, v0
	v_fma_f32 v0, v128, v1, -v0
	v_cvt_f64_f32_e32 v[0:1], v0
	v_cvt_f64_f32_e32 v[13:14], v6
	v_addc_co_u32_e32 v10, vcc, v10, v16, vcc
	v_mul_f64 v[0:1], v[0:1], s[2:3]
	global_store_dwordx2 v[9:10], v[7:8], off
	v_cvt_f32_f64_e32 v6, v[11:12]
	v_cvt_f32_f64_e32 v7, v[4:5]
	v_mul_f64 v[11:12], v[13:14], s[2:3]
	v_add_co_u32_e32 v4, vcc, s4, v9
	ds_read_b64 v[8:9], v167 offset:12960
	v_addc_co_u32_e32 v5, vcc, v10, v16, vcc
	global_store_dwordx2 v[4:5], v[6:7], off
	v_cvt_f32_f64_e32 v7, v[0:1]
	v_mul_f32_e32 v0, v125, v3
	v_fmac_f32_e32 v0, v124, v2
	v_mul_f32_e32 v2, v125, v2
	v_fma_f32 v2, v124, v3, -v2
	s_waitcnt lgkmcnt(0)
	v_mul_f32_e32 v10, v123, v9
	v_cvt_f64_f32_e32 v[0:1], v0
	v_cvt_f64_f32_e32 v[2:3], v2
	v_fmac_f32_e32 v10, v122, v8
	v_mul_f32_e32 v8, v123, v8
	v_fma_f32 v8, v122, v9, -v8
	v_cvt_f32_f64_e32 v6, v[11:12]
	v_cvt_f64_f32_e32 v[10:11], v10
	v_cvt_f64_f32_e32 v[8:9], v8
	v_add_co_u32_e32 v4, vcc, s4, v4
	v_mul_f64 v[0:1], v[0:1], s[2:3]
	v_mul_f64 v[2:3], v[2:3], s[2:3]
	v_addc_co_u32_e32 v5, vcc, v5, v16, vcc
	global_store_dwordx2 v[4:5], v[6:7], off
	v_mul_f64 v[6:7], v[10:11], s[2:3]
	v_mul_f64 v[8:9], v[8:9], s[2:3]
	v_cvt_f32_f64_e32 v0, v[0:1]
	v_cvt_f32_f64_e32 v1, v[2:3]
	v_add_co_u32_e32 v2, vcc, s4, v4
	v_addc_co_u32_e32 v3, vcc, v5, v16, vcc
	v_cvt_f32_f64_e32 v4, v[6:7]
	v_cvt_f32_f64_e32 v5, v[8:9]
	global_store_dwordx2 v[2:3], v[0:1], off
	v_add_co_u32_e32 v0, vcc, s4, v2
	v_addc_co_u32_e32 v1, vcc, v3, v16, vcc
	global_store_dwordx2 v[0:1], v[4:5], off
	s_and_b64 exec, exec, s[0:1]
	s_cbranch_execz .LBB0_15
; %bb.14:
	global_load_dwordx2 v[6:7], v[120:121], off offset:792
	v_add_u32_e32 v2, 0x200, v167
	ds_read2_b64 v[2:5], v2 offset0:35 offset1:197
	v_mov_b32_e32 v10, s5
	s_waitcnt vmcnt(0) lgkmcnt(0)
	v_mul_f32_e32 v8, v3, v7
	v_mul_f32_e32 v7, v2, v7
	v_fmac_f32_e32 v8, v2, v6
	v_fma_f32 v6, v6, v3, -v7
	v_cvt_f64_f32_e32 v[2:3], v8
	v_cvt_f64_f32_e32 v[6:7], v6
	v_mov_b32_e32 v8, 0xffffd078
	v_mad_u64_u32 v[0:1], s[0:1], s8, v8, v[0:1]
	v_mul_f64 v[2:3], v[2:3], s[2:3]
	v_mul_f64 v[6:7], v[6:7], s[2:3]
	s_mul_i32 s0, s9, 0xffffd078
	s_sub_i32 s0, s0, s8
	v_add_u32_e32 v1, s0, v1
	s_movk_i32 s0, 0x2000
	v_cvt_f32_f64_e32 v2, v[2:3]
	v_cvt_f32_f64_e32 v3, v[6:7]
	global_store_dwordx2 v[0:1], v[2:3], off
	global_load_dwordx2 v[2:3], v[120:121], off offset:2088
	s_waitcnt vmcnt(0)
	v_mul_f32_e32 v6, v5, v3
	v_mul_f32_e32 v3, v4, v3
	v_fmac_f32_e32 v6, v4, v2
	v_fma_f32 v4, v2, v5, -v3
	v_cvt_f64_f32_e32 v[2:3], v6
	v_cvt_f64_f32_e32 v[4:5], v4
	v_mul_f64 v[2:3], v[2:3], s[2:3]
	v_mul_f64 v[4:5], v[4:5], s[2:3]
	v_cvt_f32_f64_e32 v2, v[2:3]
	v_cvt_f32_f64_e32 v3, v[4:5]
	v_add_co_u32_e32 v4, vcc, s4, v0
	v_addc_co_u32_e32 v5, vcc, v1, v10, vcc
	global_store_dwordx2 v[4:5], v[2:3], off
	global_load_dwordx2 v[6:7], v[120:121], off offset:3384
	v_add_u32_e32 v0, 0xc00, v167
	ds_read2_b64 v[0:3], v0 offset0:39 offset1:201
	s_waitcnt vmcnt(0) lgkmcnt(0)
	v_mul_f32_e32 v8, v1, v7
	v_mul_f32_e32 v7, v0, v7
	v_fmac_f32_e32 v8, v0, v6
	v_fma_f32 v6, v6, v1, -v7
	v_cvt_f64_f32_e32 v[0:1], v8
	v_cvt_f64_f32_e32 v[6:7], v6
	v_add_co_u32_e32 v8, vcc, s11, v120
	v_mul_f64 v[0:1], v[0:1], s[2:3]
	v_mul_f64 v[6:7], v[6:7], s[2:3]
	v_addc_co_u32_e32 v9, vcc, 0, v121, vcc
	v_add_co_u32_e32 v4, vcc, s4, v4
	v_addc_co_u32_e32 v5, vcc, v5, v10, vcc
	v_cvt_f32_f64_e32 v0, v[0:1]
	v_cvt_f32_f64_e32 v1, v[6:7]
	global_store_dwordx2 v[4:5], v[0:1], off
	global_load_dwordx2 v[0:1], v[8:9], off offset:584
	v_add_co_u32_e32 v4, vcc, s4, v4
	v_addc_co_u32_e32 v5, vcc, v5, v10, vcc
	s_waitcnt vmcnt(0)
	v_mul_f32_e32 v6, v3, v1
	v_mul_f32_e32 v1, v2, v1
	v_fmac_f32_e32 v6, v2, v0
	v_fma_f32 v2, v0, v3, -v1
	v_cvt_f64_f32_e32 v[0:1], v6
	v_cvt_f64_f32_e32 v[2:3], v2
	v_mul_f64 v[0:1], v[0:1], s[2:3]
	v_mul_f64 v[2:3], v[2:3], s[2:3]
	v_cvt_f32_f64_e32 v0, v[0:1]
	v_cvt_f32_f64_e32 v1, v[2:3]
	global_store_dwordx2 v[4:5], v[0:1], off
	global_load_dwordx2 v[6:7], v[8:9], off offset:1880
	v_add_u32_e32 v0, 0x1600, v167
	ds_read2_b64 v[0:3], v0 offset0:43 offset1:205
	v_add_co_u32_e32 v4, vcc, s4, v4
	v_addc_co_u32_e32 v5, vcc, v5, v10, vcc
	s_waitcnt vmcnt(0) lgkmcnt(0)
	v_mul_f32_e32 v11, v1, v7
	v_mul_f32_e32 v7, v0, v7
	v_fmac_f32_e32 v11, v0, v6
	v_fma_f32 v6, v6, v1, -v7
	v_cvt_f64_f32_e32 v[0:1], v11
	v_cvt_f64_f32_e32 v[6:7], v6
	v_mul_f64 v[0:1], v[0:1], s[2:3]
	v_mul_f64 v[6:7], v[6:7], s[2:3]
	v_cvt_f32_f64_e32 v0, v[0:1]
	v_cvt_f32_f64_e32 v1, v[6:7]
	global_store_dwordx2 v[4:5], v[0:1], off
	global_load_dwordx2 v[0:1], v[8:9], off offset:3176
	s_waitcnt vmcnt(0)
	v_mul_f32_e32 v6, v3, v1
	v_mul_f32_e32 v1, v2, v1
	v_fmac_f32_e32 v6, v2, v0
	v_fma_f32 v2, v0, v3, -v1
	v_cvt_f64_f32_e32 v[0:1], v6
	v_cvt_f64_f32_e32 v[2:3], v2
	v_add_co_u32_e32 v6, vcc, s0, v120
	v_mul_f64 v[0:1], v[0:1], s[2:3]
	v_mul_f64 v[2:3], v[2:3], s[2:3]
	v_addc_co_u32_e32 v7, vcc, 0, v121, vcc
	v_add_co_u32_e32 v4, vcc, s4, v4
	v_addc_co_u32_e32 v5, vcc, v5, v10, vcc
	v_cvt_f32_f64_e32 v0, v[0:1]
	v_cvt_f32_f64_e32 v1, v[2:3]
	global_store_dwordx2 v[4:5], v[0:1], off
	global_load_dwordx2 v[8:9], v[6:7], off offset:376
	v_add_u32_e32 v0, 0x2000, v167
	ds_read2_b64 v[0:3], v0 offset0:47 offset1:209
	v_add_co_u32_e32 v4, vcc, s4, v4
	v_addc_co_u32_e32 v5, vcc, v5, v10, vcc
	s_waitcnt vmcnt(0) lgkmcnt(0)
	v_mul_f32_e32 v11, v1, v9
	v_mul_f32_e32 v9, v0, v9
	v_fmac_f32_e32 v11, v0, v8
	v_fma_f32 v8, v8, v1, -v9
	v_cvt_f64_f32_e32 v[0:1], v11
	v_cvt_f64_f32_e32 v[8:9], v8
	v_mul_f64 v[0:1], v[0:1], s[2:3]
	v_mul_f64 v[8:9], v[8:9], s[2:3]
	v_cvt_f32_f64_e32 v0, v[0:1]
	v_cvt_f32_f64_e32 v1, v[8:9]
	global_store_dwordx2 v[4:5], v[0:1], off
	global_load_dwordx2 v[0:1], v[6:7], off offset:1672
	v_add_co_u32_e32 v4, vcc, s4, v4
	v_addc_co_u32_e32 v5, vcc, v5, v10, vcc
	s_waitcnt vmcnt(0)
	v_mul_f32_e32 v8, v3, v1
	v_mul_f32_e32 v1, v2, v1
	v_fmac_f32_e32 v8, v2, v0
	v_fma_f32 v2, v0, v3, -v1
	v_cvt_f64_f32_e32 v[0:1], v8
	v_cvt_f64_f32_e32 v[2:3], v2
	v_mul_f64 v[0:1], v[0:1], s[2:3]
	v_mul_f64 v[2:3], v[2:3], s[2:3]
	v_cvt_f32_f64_e32 v0, v[0:1]
	v_cvt_f32_f64_e32 v1, v[2:3]
	global_store_dwordx2 v[4:5], v[0:1], off
	global_load_dwordx2 v[6:7], v[6:7], off offset:2968
	v_add_u32_e32 v0, 0x2a00, v167
	ds_read2_b64 v[0:3], v0 offset0:51 offset1:213
	s_waitcnt vmcnt(0) lgkmcnt(0)
	v_mul_f32_e32 v8, v1, v7
	v_mul_f32_e32 v7, v0, v7
	v_fmac_f32_e32 v8, v0, v6
	v_fma_f32 v6, v6, v1, -v7
	v_cvt_f64_f32_e32 v[0:1], v8
	v_cvt_f64_f32_e32 v[6:7], v6
	v_add_co_u32_e32 v8, vcc, s10, v120
	v_mul_f64 v[0:1], v[0:1], s[2:3]
	v_mul_f64 v[6:7], v[6:7], s[2:3]
	v_addc_co_u32_e32 v9, vcc, 0, v121, vcc
	v_add_co_u32_e32 v4, vcc, s4, v4
	v_addc_co_u32_e32 v5, vcc, v5, v10, vcc
	v_cvt_f32_f64_e32 v0, v[0:1]
	v_cvt_f32_f64_e32 v1, v[6:7]
	global_store_dwordx2 v[4:5], v[0:1], off
	global_load_dwordx2 v[0:1], v[8:9], off offset:168
	s_waitcnt vmcnt(0)
	v_mul_f32_e32 v6, v3, v1
	v_mul_f32_e32 v1, v2, v1
	v_fmac_f32_e32 v6, v2, v0
	v_fma_f32 v2, v0, v3, -v1
	v_cvt_f64_f32_e32 v[0:1], v6
	v_cvt_f64_f32_e32 v[2:3], v2
	v_mul_f64 v[0:1], v[0:1], s[2:3]
	v_mul_f64 v[2:3], v[2:3], s[2:3]
	v_cvt_f32_f64_e32 v0, v[0:1]
	v_cvt_f32_f64_e32 v1, v[2:3]
	v_add_co_u32_e32 v2, vcc, s4, v4
	v_addc_co_u32_e32 v3, vcc, v5, v10, vcc
	global_store_dwordx2 v[2:3], v[0:1], off
	global_load_dwordx2 v[0:1], v[8:9], off offset:1464
	ds_read_b64 v[4:5], v167 offset:13752
	v_add_co_u32_e32 v2, vcc, s4, v2
	v_addc_co_u32_e32 v3, vcc, v3, v10, vcc
	s_waitcnt vmcnt(0) lgkmcnt(0)
	v_mul_f32_e32 v6, v5, v1
	v_mul_f32_e32 v1, v4, v1
	v_fmac_f32_e32 v6, v4, v0
	v_fma_f32 v4, v0, v5, -v1
	v_cvt_f64_f32_e32 v[0:1], v6
	v_cvt_f64_f32_e32 v[4:5], v4
	v_mul_f64 v[0:1], v[0:1], s[2:3]
	v_mul_f64 v[4:5], v[4:5], s[2:3]
	v_cvt_f32_f64_e32 v0, v[0:1]
	v_cvt_f32_f64_e32 v1, v[4:5]
	global_store_dwordx2 v[2:3], v[0:1], off
.LBB0_15:
	s_endpgm
	.section	.rodata,"a",@progbits
	.p2align	6, 0x0
	.amdhsa_kernel bluestein_single_back_len1782_dim1_sp_op_CI_CI
		.amdhsa_group_segment_fixed_size 14256
		.amdhsa_private_segment_fixed_size 0
		.amdhsa_kernarg_size 104
		.amdhsa_user_sgpr_count 6
		.amdhsa_user_sgpr_private_segment_buffer 1
		.amdhsa_user_sgpr_dispatch_ptr 0
		.amdhsa_user_sgpr_queue_ptr 0
		.amdhsa_user_sgpr_kernarg_segment_ptr 1
		.amdhsa_user_sgpr_dispatch_id 0
		.amdhsa_user_sgpr_flat_scratch_init 0
		.amdhsa_user_sgpr_private_segment_size 0
		.amdhsa_uses_dynamic_stack 0
		.amdhsa_system_sgpr_private_segment_wavefront_offset 0
		.amdhsa_system_sgpr_workgroup_id_x 1
		.amdhsa_system_sgpr_workgroup_id_y 0
		.amdhsa_system_sgpr_workgroup_id_z 0
		.amdhsa_system_sgpr_workgroup_info 0
		.amdhsa_system_vgpr_workitem_id 0
		.amdhsa_next_free_vgpr 235
		.amdhsa_next_free_sgpr 22
		.amdhsa_reserve_vcc 1
		.amdhsa_reserve_flat_scratch 0
		.amdhsa_float_round_mode_32 0
		.amdhsa_float_round_mode_16_64 0
		.amdhsa_float_denorm_mode_32 3
		.amdhsa_float_denorm_mode_16_64 3
		.amdhsa_dx10_clamp 1
		.amdhsa_ieee_mode 1
		.amdhsa_fp16_overflow 0
		.amdhsa_exception_fp_ieee_invalid_op 0
		.amdhsa_exception_fp_denorm_src 0
		.amdhsa_exception_fp_ieee_div_zero 0
		.amdhsa_exception_fp_ieee_overflow 0
		.amdhsa_exception_fp_ieee_underflow 0
		.amdhsa_exception_fp_ieee_inexact 0
		.amdhsa_exception_int_div_zero 0
	.end_amdhsa_kernel
	.text
.Lfunc_end0:
	.size	bluestein_single_back_len1782_dim1_sp_op_CI_CI, .Lfunc_end0-bluestein_single_back_len1782_dim1_sp_op_CI_CI
                                        ; -- End function
	.section	.AMDGPU.csdata,"",@progbits
; Kernel info:
; codeLenInByte = 23068
; NumSgprs: 26
; NumVgprs: 235
; ScratchSize: 0
; MemoryBound: 0
; FloatMode: 240
; IeeeMode: 1
; LDSByteSize: 14256 bytes/workgroup (compile time only)
; SGPRBlocks: 3
; VGPRBlocks: 58
; NumSGPRsForWavesPerEU: 26
; NumVGPRsForWavesPerEU: 235
; Occupancy: 1
; WaveLimiterHint : 1
; COMPUTE_PGM_RSRC2:SCRATCH_EN: 0
; COMPUTE_PGM_RSRC2:USER_SGPR: 6
; COMPUTE_PGM_RSRC2:TRAP_HANDLER: 0
; COMPUTE_PGM_RSRC2:TGID_X_EN: 1
; COMPUTE_PGM_RSRC2:TGID_Y_EN: 0
; COMPUTE_PGM_RSRC2:TGID_Z_EN: 0
; COMPUTE_PGM_RSRC2:TIDIG_COMP_CNT: 0
	.type	__hip_cuid_15697caf5b4326f3,@object ; @__hip_cuid_15697caf5b4326f3
	.section	.bss,"aw",@nobits
	.globl	__hip_cuid_15697caf5b4326f3
__hip_cuid_15697caf5b4326f3:
	.byte	0                               ; 0x0
	.size	__hip_cuid_15697caf5b4326f3, 1

	.ident	"AMD clang version 19.0.0git (https://github.com/RadeonOpenCompute/llvm-project roc-6.4.0 25133 c7fe45cf4b819c5991fe208aaa96edf142730f1d)"
	.section	".note.GNU-stack","",@progbits
	.addrsig
	.addrsig_sym __hip_cuid_15697caf5b4326f3
	.amdgpu_metadata
---
amdhsa.kernels:
  - .args:
      - .actual_access:  read_only
        .address_space:  global
        .offset:         0
        .size:           8
        .value_kind:     global_buffer
      - .actual_access:  read_only
        .address_space:  global
        .offset:         8
        .size:           8
        .value_kind:     global_buffer
      - .actual_access:  read_only
        .address_space:  global
        .offset:         16
        .size:           8
        .value_kind:     global_buffer
      - .actual_access:  read_only
        .address_space:  global
        .offset:         24
        .size:           8
        .value_kind:     global_buffer
      - .actual_access:  read_only
        .address_space:  global
        .offset:         32
        .size:           8
        .value_kind:     global_buffer
      - .offset:         40
        .size:           8
        .value_kind:     by_value
      - .address_space:  global
        .offset:         48
        .size:           8
        .value_kind:     global_buffer
      - .address_space:  global
        .offset:         56
        .size:           8
        .value_kind:     global_buffer
      - .address_space:  global
        .offset:         64
        .size:           8
        .value_kind:     global_buffer
      - .address_space:  global
        .offset:         72
        .size:           8
        .value_kind:     global_buffer
      - .offset:         80
        .size:           4
        .value_kind:     by_value
      - .address_space:  global
        .offset:         88
        .size:           8
        .value_kind:     global_buffer
      - .address_space:  global
        .offset:         96
        .size:           8
        .value_kind:     global_buffer
    .group_segment_fixed_size: 14256
    .kernarg_segment_align: 8
    .kernarg_segment_size: 104
    .language:       OpenCL C
    .language_version:
      - 2
      - 0
    .max_flat_workgroup_size: 99
    .name:           bluestein_single_back_len1782_dim1_sp_op_CI_CI
    .private_segment_fixed_size: 0
    .sgpr_count:     26
    .sgpr_spill_count: 0
    .symbol:         bluestein_single_back_len1782_dim1_sp_op_CI_CI.kd
    .uniform_work_group_size: 1
    .uses_dynamic_stack: false
    .vgpr_count:     235
    .vgpr_spill_count: 0
    .wavefront_size: 64
amdhsa.target:   amdgcn-amd-amdhsa--gfx906
amdhsa.version:
  - 1
  - 2
...

	.end_amdgpu_metadata
